;; amdgpu-corpus repo=ROCm/rocFFT kind=compiled arch=gfx1030 opt=O3
	.text
	.amdgcn_target "amdgcn-amd-amdhsa--gfx1030"
	.amdhsa_code_object_version 6
	.protected	bluestein_single_fwd_len714_dim1_dp_op_CI_CI ; -- Begin function bluestein_single_fwd_len714_dim1_dp_op_CI_CI
	.globl	bluestein_single_fwd_len714_dim1_dp_op_CI_CI
	.p2align	8
	.type	bluestein_single_fwd_len714_dim1_dp_op_CI_CI,@function
bluestein_single_fwd_len714_dim1_dp_op_CI_CI: ; @bluestein_single_fwd_len714_dim1_dp_op_CI_CI
; %bb.0:
	s_load_dwordx4 s[8:11], s[4:5], 0x28
	v_mul_u32_u24_e32 v1, 0x506, v0
	s_mov_b64 s[62:63], s[2:3]
	s_mov_b64 s[60:61], s[0:1]
	v_mov_b32_e32 v8, 0
	s_add_u32 s60, s60, s7
	v_lshrrev_b32_e32 v1, 16, v1
	s_addc_u32 s61, s61, 0
	s_mov_b32 s0, exec_lo
	v_add_nc_u32_e32 v7, s6, v1
	s_waitcnt lgkmcnt(0)
	v_cmpx_gt_u64_e64 s[8:9], v[7:8]
	s_cbranch_execz .LBB0_23
; %bb.1:
	s_clause 0x1
	s_load_dwordx4 s[0:3], s[4:5], 0x18
	s_load_dwordx2 s[6:7], s[4:5], 0x0
	v_mul_lo_u16 v1, v1, 51
	v_mov_b32_e32 v8, v7
	v_sub_nc_u16 v2, v0, v1
	v_and_b32_e32 v232, 0xffff, v2
	v_lshlrev_b32_e32 v255, 4, v232
	s_waitcnt lgkmcnt(0)
	s_load_dwordx4 s[12:15], s[0:1], 0x0
	s_clause 0x2
	global_load_dwordx4 v[73:76], v255, s[6:7]
	global_load_dwordx4 v[117:120], v255, s[6:7] offset:816
	global_load_dwordx4 v[97:100], v255, s[6:7] offset:1632
	v_add_co_u32 v238, s0, s6, v255
	v_add_co_ci_u32_e64 v46, null, s7, 0, s0
	v_add_co_u32 v9, vcc_lo, 0x800, v238
	v_add_co_ci_u32_e32 v10, vcc_lo, 0, v46, vcc_lo
	v_add_co_u32 v49, vcc_lo, 0x1800, v238
	v_add_co_ci_u32_e32 v50, vcc_lo, 0, v46, vcc_lo
	;; [unrolled: 2-line block ×3, first 2 shown]
	global_load_dwordx4 v[133:136], v[49:50], off offset:1472
	buffer_store_dword v8, off, s[60:63], 0 offset:16 ; 4-byte Folded Spill
	buffer_store_dword v9, off, s[60:63], 0 offset:20 ; 4-byte Folded Spill
	v_add_co_u32 v43, vcc_lo, 0x2000, v238
	v_add_co_ci_u32_e32 v44, vcc_lo, 0, v46, vcc_lo
	s_clause 0x3
	global_load_dwordx4 v[105:108], v[5:6], off offset:528
	global_load_dwordx4 v[101:104], v[5:6], off offset:1344
	;; [unrolled: 1-line block ×4, first 2 shown]
	s_waitcnt lgkmcnt(0)
	v_mad_u64_u32 v[0:1], null, s14, v7, 0
	v_mad_u64_u32 v[3:4], null, s12, v232, 0
	s_mul_i32 s1, s13, 0xee
	s_mul_hi_u32 s7, s12, 0xee
	s_mul_i32 s0, s12, 0xee
	s_mul_hi_u32 s9, s12, 0xfffffe57
	v_mad_u64_u32 v[7:8], null, s15, v7, v[1:2]
	v_mad_u64_u32 v[4:5], null, s13, v232, v[4:5]
	s_add_i32 s1, s7, s1
	s_mul_i32 s8, s13, 0xfffffe57
	s_mul_i32 s6, s12, 0xfffffe57
	s_sub_i32 s7, s9, s12
	v_mov_b32_e32 v1, v7
	s_lshl_b64 s[12:13], s[0:1], 4
	v_lshlrev_b64 v[3:4], 4, v[3:4]
	s_add_i32 s7, s7, s8
	v_lshlrev_b64 v[0:1], 4, v[0:1]
	s_lshl_b64 s[0:1], s[6:7], 4
	v_add_co_u32 v0, vcc_lo, s10, v0
	v_add_co_ci_u32_e32 v1, vcc_lo, s11, v1, vcc_lo
	v_add_co_u32 v0, vcc_lo, v0, v3
	v_add_co_ci_u32_e32 v1, vcc_lo, v1, v4, vcc_lo
	;; [unrolled: 2-line block ×6, first 2 shown]
	global_load_dwordx4 v[137:140], v[9:10], off offset:1760
	buffer_store_dword v9, off, s[60:63], 0 offset:8 ; 4-byte Folded Spill
	buffer_store_dword v10, off, s[60:63], 0 offset:12 ; 4-byte Folded Spill
	global_load_dwordx4 v[121:124], v[9:10], off offset:400
	s_clause 0x1
	global_load_dwordx4 v[3:6], v[0:1], off
	global_load_dwordx4 v[7:10], v[7:8], off
	v_add_co_u32 v0, vcc_lo, v19, s12
	v_add_co_ci_u32_e32 v1, vcc_lo, s13, v20, vcc_lo
	s_clause 0x1
	global_load_dwordx4 v[11:14], v[11:12], off
	global_load_dwordx4 v[15:18], v[15:16], off
	v_add_co_u32 v27, vcc_lo, v0, s0
	v_add_co_ci_u32_e32 v28, vcc_lo, s1, v1, vcc_lo
	global_load_dwordx4 v[23:26], v[0:1], off
	v_add_co_u32 v31, vcc_lo, v27, s12
	v_add_co_ci_u32_e32 v32, vcc_lo, s13, v28, vcc_lo
	;; [unrolled: 3-line block ×5, first 2 shown]
	global_load_dwordx4 v[35:38], v[0:1], off
	global_load_dwordx4 v[39:42], v[39:40], off
	buffer_store_dword v49, off, s[60:63], 0 ; 4-byte Folded Spill
	buffer_store_dword v50, off, s[60:63], 0 offset:4 ; 4-byte Folded Spill
	v_add_co_u32 v0, vcc_lo, v47, s12
	v_add_co_ci_u32_e32 v1, vcc_lo, s13, v48, vcc_lo
	v_cmp_gt_u16_e32 vcc_lo, 34, v2
	global_load_dwordx4 v[125:128], v[49:50], off offset:112
	global_load_dwordx4 v[47:50], v[47:48], off
	global_load_dwordx4 v[129:132], v[43:44], off offset:1872
	global_load_dwordx4 v[51:54], v[0:1], off
	s_waitcnt vmcnt(13)
	v_mul_f64 v[43:44], v[5:6], v[75:76]
	v_mul_f64 v[55:56], v[3:4], v[75:76]
	s_waitcnt vmcnt(12)
	v_mul_f64 v[57:58], v[9:10], v[139:140]
	s_waitcnt vmcnt(11)
	;; [unrolled: 2-line block ×7, first 2 shown]
	v_mul_f64 v[85:86], v[41:42], v[123:124]
	v_mul_f64 v[59:60], v[7:8], v[139:140]
	;; [unrolled: 1-line block ×8, first 2 shown]
	v_fma_f64 v[3:4], v[3:4], v[73:74], v[43:44]
	buffer_store_dword v73, off, s[60:63], 0 offset:40 ; 4-byte Folded Spill
	buffer_store_dword v74, off, s[60:63], 0 offset:44 ; 4-byte Folded Spill
	;; [unrolled: 1-line block ×4, first 2 shown]
	v_mul_f64 v[43:44], v[25:26], v[115:116]
	v_mul_f64 v[75:76], v[27:28], v[99:100]
	v_fma_f64 v[7:8], v[7:8], v[137:138], v[57:58]
	buffer_store_dword v137, off, s[60:63], 0 offset:200 ; 4-byte Folded Spill
	buffer_store_dword v138, off, s[60:63], 0 offset:204 ; 4-byte Folded Spill
	buffer_store_dword v139, off, s[60:63], 0 offset:208 ; 4-byte Folded Spill
	buffer_store_dword v140, off, s[60:63], 0 offset:212 ; 4-byte Folded Spill
	v_fma_f64 v[11:12], v[11:12], v[133:134], v[61:62]
	buffer_store_dword v133, off, s[60:63], 0 offset:184 ; 4-byte Folded Spill
	buffer_store_dword v134, off, s[60:63], 0 offset:188 ; 4-byte Folded Spill
	buffer_store_dword v135, off, s[60:63], 0 offset:192 ; 4-byte Folded Spill
	buffer_store_dword v136, off, s[60:63], 0 offset:196 ; 4-byte Folded Spill
	;; [unrolled: 5-line block ×4, first 2 shown]
	v_fma_f64 v[31:32], v[31:32], v[101:102], v[77:78]
	v_fma_f64 v[35:36], v[35:36], v[109:110], v[81:82]
	;; [unrolled: 1-line block ×3, first 2 shown]
	s_waitcnt vmcnt(2)
	v_mul_f64 v[89:90], v[49:50], v[127:128]
	v_mul_f64 v[91:92], v[47:48], v[127:128]
	s_waitcnt vmcnt(0)
	v_mul_f64 v[93:94], v[53:54], v[131:132]
	v_mul_f64 v[95:96], v[51:52], v[131:132]
	v_fma_f64 v[47:48], v[47:48], v[125:126], v[89:90]
	v_fma_f64 v[5:6], v[5:6], v[73:74], -v[55:56]
	v_mul_f64 v[73:74], v[29:30], v[99:100]
	v_mul_f64 v[55:56], v[23:24], v[115:116]
	v_fma_f64 v[23:24], v[23:24], v[113:114], v[43:44]
	buffer_store_dword v113, off, s[60:63], 0 offset:104 ; 4-byte Folded Spill
	buffer_store_dword v114, off, s[60:63], 0 offset:108 ; 4-byte Folded Spill
	;; [unrolled: 1-line block ×4, first 2 shown]
	v_fma_f64 v[51:52], v[51:52], v[129:130], v[93:94]
	v_fma_f64 v[9:10], v[9:10], v[137:138], -v[59:60]
	v_fma_f64 v[13:14], v[13:14], v[133:134], -v[63:64]
	;; [unrolled: 1-line block ×4, first 2 shown]
	v_fma_f64 v[27:28], v[27:28], v[97:98], v[73:74]
	buffer_store_dword v97, off, s[60:63], 0 offset:24 ; 4-byte Folded Spill
	buffer_store_dword v98, off, s[60:63], 0 offset:28 ; 4-byte Folded Spill
	buffer_store_dword v99, off, s[60:63], 0 offset:32 ; 4-byte Folded Spill
	buffer_store_dword v100, off, s[60:63], 0 offset:36 ; 4-byte Folded Spill
	buffer_store_dword v101, off, s[60:63], 0 offset:56 ; 4-byte Folded Spill
	buffer_store_dword v102, off, s[60:63], 0 offset:60 ; 4-byte Folded Spill
	buffer_store_dword v103, off, s[60:63], 0 offset:64 ; 4-byte Folded Spill
	buffer_store_dword v104, off, s[60:63], 0 offset:68 ; 4-byte Folded Spill
	buffer_store_dword v109, off, s[60:63], 0 offset:88 ; 4-byte Folded Spill
	buffer_store_dword v110, off, s[60:63], 0 offset:92 ; 4-byte Folded Spill
	buffer_store_dword v111, off, s[60:63], 0 offset:96 ; 4-byte Folded Spill
	buffer_store_dword v112, off, s[60:63], 0 offset:100 ; 4-byte Folded Spill
	buffer_store_dword v121, off, s[60:63], 0 offset:136 ; 4-byte Folded Spill
	buffer_store_dword v122, off, s[60:63], 0 offset:140 ; 4-byte Folded Spill
	buffer_store_dword v123, off, s[60:63], 0 offset:144 ; 4-byte Folded Spill
	buffer_store_dword v124, off, s[60:63], 0 offset:148 ; 4-byte Folded Spill
	buffer_store_dword v125, off, s[60:63], 0 offset:152 ; 4-byte Folded Spill
	buffer_store_dword v126, off, s[60:63], 0 offset:156 ; 4-byte Folded Spill
	buffer_store_dword v127, off, s[60:63], 0 offset:160 ; 4-byte Folded Spill
	buffer_store_dword v128, off, s[60:63], 0 offset:164 ; 4-byte Folded Spill
	buffer_store_dword v129, off, s[60:63], 0 offset:168 ; 4-byte Folded Spill
	buffer_store_dword v130, off, s[60:63], 0 offset:172 ; 4-byte Folded Spill
	buffer_store_dword v131, off, s[60:63], 0 offset:176 ; 4-byte Folded Spill
	buffer_store_dword v132, off, s[60:63], 0 offset:180 ; 4-byte Folded Spill
	s_load_dwordx2 s[6:7], s[4:5], 0x38
	s_load_dwordx4 s[8:11], s[2:3], 0x0
	v_fma_f64 v[25:26], v[25:26], v[113:114], -v[55:56]
	v_fma_f64 v[29:30], v[29:30], v[97:98], -v[75:76]
	;; [unrolled: 1-line block ×7, first 2 shown]
	ds_write_b128 v255, v[3:6]
	ds_write_b128 v255, v[7:10] offset:3808
	ds_write_b128 v255, v[11:14] offset:7616
	;; [unrolled: 1-line block ×11, first 2 shown]
	s_and_saveexec_b32 s2, vcc_lo
	s_cbranch_execz .LBB0_3
; %bb.2:
	v_add_co_u32 v4, s0, v0, s0
	v_add_co_ci_u32_e64 v5, s0, s1, v1, s0
	v_add_co_u32 v8, s0, v4, s12
	global_load_dwordx4 v[0:3], v[4:5], off
	v_add_co_ci_u32_e64 v9, s0, s13, v5, s0
	s_clause 0x1
	buffer_load_dword v4, off, s[60:63], 0 offset:8
	buffer_load_dword v5, off, s[60:63], 0 offset:12
	v_add_co_u32 v16, s0, 0x2800, v238
	v_add_co_ci_u32_e64 v17, s0, 0, v46, s0
	v_add_co_u32 v20, s0, v8, s12
	v_add_co_ci_u32_e64 v21, s0, s13, v9, s0
	s_waitcnt vmcnt(0)
	global_load_dwordx4 v[4:7], v[4:5], off offset:1216
	global_load_dwordx4 v[8:11], v[8:9], off
	s_clause 0x1
	buffer_load_dword v12, off, s[60:63], 0
	buffer_load_dword v13, off, s[60:63], 0 offset:4
	s_waitcnt vmcnt(0)
	s_clause 0x1
	global_load_dwordx4 v[12:15], v[12:13], off offset:928
	global_load_dwordx4 v[16:19], v[16:17], off offset:640
	global_load_dwordx4 v[20:23], v[20:21], off
	v_mul_f64 v[24:25], v[2:3], v[6:7]
	v_mul_f64 v[6:7], v[0:1], v[6:7]
	v_fma_f64 v[0:1], v[0:1], v[4:5], v[24:25]
	v_fma_f64 v[2:3], v[2:3], v[4:5], -v[6:7]
	s_waitcnt vmcnt(2)
	v_mul_f64 v[26:27], v[10:11], v[14:15]
	v_mul_f64 v[14:15], v[8:9], v[14:15]
	s_waitcnt vmcnt(0)
	v_mul_f64 v[28:29], v[22:23], v[18:19]
	v_mul_f64 v[18:19], v[20:21], v[18:19]
	v_fma_f64 v[4:5], v[8:9], v[12:13], v[26:27]
	v_fma_f64 v[6:7], v[10:11], v[12:13], -v[14:15]
	v_fma_f64 v[8:9], v[20:21], v[16:17], v[28:29]
	v_fma_f64 v[10:11], v[22:23], v[16:17], -v[18:19]
	ds_write_b128 v255, v[0:3] offset:3264
	ds_write_b128 v255, v[4:7] offset:7072
	;; [unrolled: 1-line block ×3, first 2 shown]
.LBB0_3:
	s_or_b32 exec_lo, exec_lo, s2
	s_waitcnt lgkmcnt(0)
	s_waitcnt_vscnt null, 0x0
	s_barrier
	buffer_gl0_inv
	ds_read_b128 v[106:109], v255
	ds_read_b128 v[50:53], v255 offset:816
	ds_read_b128 v[110:113], v255 offset:3808
	;; [unrolled: 1-line block ×11, first 2 shown]
                                        ; implicit-def: $vgpr68_vgpr69
                                        ; implicit-def: $vgpr94_vgpr95
                                        ; implicit-def: $vgpr76_vgpr77
	s_and_saveexec_b32 s0, vcc_lo
	s_cbranch_execz .LBB0_5
; %bb.4:
	ds_read_b128 v[68:71], v255 offset:3264
	ds_read_b128 v[94:97], v255 offset:7072
	;; [unrolled: 1-line block ×3, first 2 shown]
.LBB0_5:
	s_or_b32 exec_lo, exec_lo, s0
	s_waitcnt lgkmcnt(7)
	v_add_f64 v[0:1], v[110:111], v[88:89]
	v_add_f64 v[2:3], v[112:113], v[90:91]
	s_waitcnt lgkmcnt(6)
	v_add_f64 v[8:9], v[102:103], v[60:61]
	v_add_f64 v[4:5], v[106:107], v[110:111]
	v_add_f64 v[6:7], v[112:113], -v[90:91]
	v_add_f64 v[10:11], v[108:109], v[112:113]
	v_add_f64 v[12:13], v[50:51], v[102:103]
	;; [unrolled: 1-line block ×3, first 2 shown]
	s_waitcnt lgkmcnt(1)
	v_add_f64 v[16:17], v[98:99], v[72:73]
	v_add_f64 v[18:19], v[100:101], v[74:75]
	v_add_f64 v[20:21], v[110:111], -v[88:89]
	v_add_f64 v[22:23], v[104:105], -v[62:63]
	s_waitcnt lgkmcnt(0)
	v_add_f64 v[26:27], v[84:85], v[64:65]
	v_add_f64 v[32:33], v[86:87], v[66:67]
	;; [unrolled: 1-line block ×4, first 2 shown]
	s_mov_b32 s0, 0xe8584caa
	s_load_dwordx2 s[2:3], s[4:5], 0x8
	s_mov_b32 s1, 0x3febb67a
	s_mov_b32 s5, 0xbfebb67a
	;; [unrolled: 1-line block ×3, first 2 shown]
	v_add_f64 v[24:25], v[52:53], v[104:105]
	v_fma_f64 v[0:1], v[0:1], -0.5, v[106:107]
	v_fma_f64 v[2:3], v[2:3], -0.5, v[108:109]
	;; [unrolled: 1-line block ×3, first 2 shown]
	v_add_f64 v[28:29], v[102:103], -v[60:61]
	v_add_f64 v[30:31], v[54:55], v[98:99]
	v_add_f64 v[34:35], v[100:101], -v[74:75]
	v_add_f64 v[36:37], v[56:57], v[100:101]
	;; [unrolled: 2-line block ×3, first 2 shown]
	v_add_f64 v[50:51], v[10:11], v[90:91]
	v_add_f64 v[60:61], v[12:13], v[60:61]
	v_fma_f64 v[4:5], v[14:15], -0.5, v[52:53]
	v_fma_f64 v[10:11], v[16:17], -0.5, v[54:55]
	;; [unrolled: 1-line block ×3, first 2 shown]
	v_add_f64 v[14:15], v[82:83], v[86:87]
	v_fma_f64 v[16:17], v[32:33], -0.5, v[82:83]
	v_add_f64 v[18:19], v[84:85], -v[64:65]
	v_add_f64 v[32:33], v[96:97], -v[78:79]
	v_add_nc_u32_e32 v44, 51, v232
	v_add_nc_u32_e32 v45, 0x66, v232
	;; [unrolled: 1-line block ×3, first 2 shown]
	v_add_f64 v[62:63], v[24:25], v[62:63]
	v_fma_f64 v[52:53], v[6:7], s[0:1], v[0:1]
	v_fma_f64 v[56:57], v[6:7], s[4:5], v[0:1]
	v_fma_f64 v[54:55], v[20:21], s[4:5], v[2:3]
	v_fma_f64 v[58:59], v[20:21], s[0:1], v[2:3]
	v_add_f64 v[0:1], v[80:81], v[84:85]
	v_fma_f64 v[2:3], v[26:27], -0.5, v[80:81]
	v_add_f64 v[6:7], v[86:87], -v[66:67]
	v_add_f64 v[20:21], v[68:69], v[94:95]
	v_fma_f64 v[26:27], v[38:39], -0.5, v[68:69]
	v_fma_f64 v[68:69], v[22:23], s[0:1], v[8:9]
	v_fma_f64 v[92:93], v[22:23], s[4:5], v[8:9]
	v_add_f64 v[8:9], v[70:71], v[96:97]
	v_fma_f64 v[22:23], v[42:43], -0.5, v[70:71]
	v_add_f64 v[38:39], v[94:95], -v[76:77]
	v_fma_f64 v[70:71], v[28:29], s[4:5], v[4:5]
	v_fma_f64 v[94:95], v[28:29], s[0:1], v[4:5]
	v_add_f64 v[108:109], v[30:31], v[72:73]
	v_fma_f64 v[132:133], v[34:35], s[0:1], v[10:11]
	v_fma_f64 v[136:137], v[34:35], s[4:5], v[10:11]
	v_add_f64 v[110:111], v[36:37], v[74:75]
	;; [unrolled: 3-line block ×3, first 2 shown]
	v_fma_f64 v[150:151], v[18:19], s[4:5], v[16:17]
	v_fma_f64 v[66:67], v[18:19], s[0:1], v[16:17]
	v_add_co_u32 v114, null, 0xcc, v232
	v_add_f64 v[140:141], v[0:1], v[64:65]
	v_fma_f64 v[148:149], v[6:7], s[0:1], v[2:3]
	v_fma_f64 v[64:65], v[6:7], s[4:5], v[2:3]
	v_add_f64 v[120:121], v[20:21], v[76:77]
	v_fma_f64 v[124:125], v[32:33], s[0:1], v[26:27]
	v_fma_f64 v[128:129], v[32:33], s[4:5], v[26:27]
	v_add_f64 v[122:123], v[8:9], v[78:79]
	v_mul_lo_u16 v0, v232, 3
	v_fma_f64 v[126:127], v[38:39], s[4:5], v[22:23]
	v_fma_f64 v[130:131], v[38:39], s[0:1], v[22:23]
	v_mov_b32_e32 v1, 4
	v_mul_u32_u24_e32 v247, 3, v114
	s_waitcnt lgkmcnt(0)
	s_barrier
	buffer_gl0_inv
	v_lshlrev_b32_sdwa v233, v1, v0 dst_sel:DWORD dst_unused:UNUSED_PAD src0_sel:DWORD src1_sel:WORD_0
	v_mul_u32_u24_e32 v0, 3, v44
	v_mul_u32_u24_e32 v1, 3, v45
	ds_write_b128 v233, v[48:51]
	v_lshlrev_b32_e32 v242, 4, v0
	v_mul_u32_u24_e32 v0, 3, v47
	v_lshlrev_b32_e32 v47, 4, v1
	ds_write_b128 v233, v[52:55] offset:16
	ds_write_b128 v233, v[56:59] offset:32
	ds_write_b128 v242, v[60:63]
	ds_write_b128 v242, v[68:71] offset:16
	ds_write_b128 v242, v[92:95] offset:32
	v_lshlrev_b32_e32 v241, 4, v0
	ds_write_b128 v47, v[108:111]
	ds_write_b128 v47, v[132:135] offset:16
	ds_write_b128 v47, v[136:139] offset:32
	ds_write_b128 v241, v[140:143]
	ds_write_b128 v241, v[148:151] offset:16
	ds_write_b128 v241, v[64:67] offset:32
	s_and_saveexec_b32 s0, vcc_lo
	s_cbranch_execz .LBB0_7
; %bb.6:
	v_lshlrev_b32_e32 v0, 4, v247
	ds_write_b128 v0, v[120:123]
	ds_write_b128 v0, v[124:127] offset:16
	ds_write_b128 v0, v[128:131] offset:32
.LBB0_7:
	s_or_b32 exec_lo, exec_lo, s0
	v_cmp_gt_u16_e64 s0, 42, v232
	s_waitcnt lgkmcnt(0)
	s_barrier
	buffer_gl0_inv
                                        ; implicit-def: $vgpr152_vgpr153
                                        ; implicit-def: $vgpr160_vgpr161
	s_and_saveexec_b32 s1, s0
	s_cbranch_execz .LBB0_9
; %bb.8:
	ds_read_b128 v[48:51], v255
	ds_read_b128 v[52:55], v255 offset:672
	ds_read_b128 v[56:59], v255 offset:1344
	;; [unrolled: 1-line block ×16, first 2 shown]
.LBB0_9:
	s_or_b32 exec_lo, exec_lo, s1
	v_and_b32_e32 v0, 0xff, v232
	s_mov_b32 s20, 0x5d8e7cdc
	s_mov_b32 s21, 0xbfd71e95
	;; [unrolled: 1-line block ×4, first 2 shown]
	v_mul_lo_u16 v0, 0xab, v0
	s_mov_b32 s17, 0x3fedd6d0
	s_mov_b32 s13, 0xbfe58eea
	;; [unrolled: 1-line block ×4, first 2 shown]
	v_lshrrev_b16 v0, 9, v0
	s_mov_b32 s18, 0x7c9e640b
	s_mov_b32 s19, 0xbfeca52d
	;; [unrolled: 1-line block ×4, first 2 shown]
	buffer_store_dword v0, off, s[60:63], 0 offset:220 ; 4-byte Folded Spill
	v_mul_lo_u16 v0, v0, 3
	s_mov_b32 s48, 0xeb564b22
	s_mov_b32 s49, 0xbfefdd0d
	;; [unrolled: 1-line block ×4, first 2 shown]
	v_sub_nc_u16 v0, v232, v0
	s_mov_b32 s46, 0x923c349f
	s_mov_b32 s47, 0x3feec746
	;; [unrolled: 1-line block ×4, first 2 shown]
	v_and_b32_e32 v0, 0xff, v0
	s_mov_b32 s28, 0xc61f0d01
	s_mov_b32 s29, 0xbfd183b1
	;; [unrolled: 1-line block ×4, first 2 shown]
	v_lshlrev_b32_e32 v4, 8, v0
	buffer_store_dword v0, off, s[60:63], 0 offset:216 ; 4-byte Folded Spill
	s_mov_b32 s22, 0x6ed5f1bb
	s_mov_b32 s23, 0xbfe348c8
	s_clause 0xb
	global_load_dwordx4 v[88:91], v4, s[2:3]
	global_load_dwordx4 v[116:119], v4, s[2:3] offset:16
	global_load_dwordx4 v[112:115], v4, s[2:3] offset:32
	global_load_dwordx4 v[100:103], v4, s[2:3] offset:48
	global_load_dwordx4 v[84:87], v4, s[2:3] offset:64
	global_load_dwordx4 v[80:83], v4, s[2:3] offset:80
	global_load_dwordx4 v[76:79], v4, s[2:3] offset:96
	global_load_dwordx4 v[144:147], v4, s[2:3] offset:240
	global_load_dwordx4 v[5:8], v4, s[2:3] offset:112
	global_load_dwordx4 v[96:99], v4, s[2:3] offset:128
	global_load_dwordx4 v[72:75], v4, s[2:3] offset:144
	global_load_dwordx4 v[156:159], v4, s[2:3] offset:224
	s_mov_b32 s40, 0x4363dd80
	s_mov_b32 s41, 0x3fe0d888
	;; [unrolled: 1-line block ×18, first 2 shown]
	s_waitcnt vmcnt(11) lgkmcnt(15)
	v_mul_f64 v[0:1], v[54:55], v[90:91]
	v_mul_f64 v[2:3], v[52:53], v[90:91]
	v_fma_f64 v[16:17], v[52:53], v[88:89], -v[0:1]
	s_waitcnt vmcnt(10) lgkmcnt(14)
	v_mul_f64 v[0:1], v[58:59], v[118:119]
	v_fma_f64 v[22:23], v[54:55], v[88:89], v[2:3]
	v_mul_f64 v[2:3], v[56:57], v[118:119]
	v_fma_f64 v[204:205], v[56:57], v[116:117], -v[0:1]
	s_waitcnt vmcnt(9) lgkmcnt(13)
	v_mul_f64 v[0:1], v[62:63], v[114:115]
	v_fma_f64 v[206:207], v[58:59], v[116:117], v[2:3]
	v_mul_f64 v[2:3], v[60:61], v[114:115]
	v_fma_f64 v[198:199], v[60:61], v[112:113], -v[0:1]
	s_waitcnt vmcnt(8) lgkmcnt(12)
	v_mul_f64 v[0:1], v[70:71], v[102:103]
	v_fma_f64 v[202:203], v[62:63], v[112:113], v[2:3]
	v_mul_f64 v[2:3], v[68:69], v[102:103]
	v_fma_f64 v[194:195], v[68:69], v[100:101], -v[0:1]
	s_waitcnt vmcnt(7) lgkmcnt(11)
	v_mul_f64 v[0:1], v[94:95], v[86:87]
	v_fma_f64 v[70:71], v[70:71], v[100:101], v[2:3]
	v_mul_f64 v[2:3], v[92:93], v[86:87]
	v_fma_f64 v[192:193], v[92:93], v[84:85], -v[0:1]
	s_waitcnt vmcnt(6) lgkmcnt(10)
	v_mul_f64 v[0:1], v[110:111], v[82:83]
	v_fma_f64 v[200:201], v[94:95], v[84:85], v[2:3]
	v_mul_f64 v[2:3], v[108:109], v[82:83]
	v_fma_f64 v[190:191], v[108:109], v[80:81], -v[0:1]
	s_waitcnt vmcnt(5) lgkmcnt(9)
	v_mul_f64 v[0:1], v[134:135], v[78:79]
	v_fma_f64 v[196:197], v[110:111], v[80:81], v[2:3]
	v_mul_f64 v[2:3], v[132:133], v[78:79]
	v_fma_f64 v[186:187], v[132:133], v[76:77], -v[0:1]
	s_waitcnt vmcnt(4) lgkmcnt(0)
	v_mul_f64 v[0:1], v[160:161], v[146:147]
	v_fma_f64 v[188:189], v[134:135], v[76:77], v[2:3]
	v_mul_f64 v[2:3], v[162:163], v[146:147]
	v_fma_f64 v[226:227], v[162:163], v[144:145], v[0:1]
	s_waitcnt vmcnt(3)
	v_mul_f64 v[0:1], v[138:139], v[7:8]
	v_fma_f64 v[52:53], v[160:161], v[144:145], -v[2:3]
	v_mul_f64 v[2:3], v[136:137], v[7:8]
	v_add_f64 v[60:61], v[22:23], -v[226:227]
	v_fma_f64 v[180:181], v[136:137], v[5:6], -v[0:1]
	buffer_store_dword v5, off, s[60:63], 0 offset:224 ; 4-byte Folded Spill
	buffer_store_dword v6, off, s[60:63], 0 offset:228 ; 4-byte Folded Spill
	buffer_store_dword v7, off, s[60:63], 0 offset:232 ; 4-byte Folded Spill
	buffer_store_dword v8, off, s[60:63], 0 offset:236 ; 4-byte Folded Spill
	s_waitcnt vmcnt(2)
	v_mul_f64 v[0:1], v[142:143], v[98:99]
	v_add_f64 v[12:13], v[16:17], v[52:53]
	v_add_f64 v[38:39], v[16:17], -v[52:53]
	v_add_f64 v[68:69], v[22:23], v[226:227]
	v_mul_f64 v[40:41], v[60:61], s[12:13]
	v_mul_f64 v[132:133], v[60:61], s[18:19]
	v_fma_f64 v[178:179], v[140:141], v[96:97], -v[0:1]
	s_waitcnt vmcnt(1)
	v_mul_f64 v[0:1], v[150:151], v[74:75]
	v_mul_f64 v[62:63], v[38:39], s[20:21]
	;; [unrolled: 1-line block ×4, first 2 shown]
	v_add_f64 v[208:209], v[180:181], v[178:179]
	v_add_f64 v[210:211], v[180:181], -v[178:179]
	v_fma_f64 v[182:183], v[138:139], v[5:6], v[2:3]
	s_clause 0x1
	global_load_dwordx4 v[92:95], v4, s[2:3] offset:160
	global_load_dwordx4 v[5:8], v4, s[2:3] offset:176
	v_mul_f64 v[2:3], v[140:141], v[98:99]
	v_fma_f64 v[253:254], v[142:143], v[96:97], v[2:3]
	v_mul_f64 v[2:3], v[148:149], v[74:75]
	v_fma_f64 v[142:143], v[148:149], v[72:73], -v[0:1]
	s_waitcnt vmcnt(2)
	v_mul_f64 v[0:1], v[152:153], v[158:159]
	v_add_f64 v[222:223], v[182:183], -v[253:254]
	v_fma_f64 v[148:149], v[150:151], v[72:73], v[2:3]
	v_mul_f64 v[2:3], v[154:155], v[158:159]
	v_fma_f64 v[136:137], v[154:155], v[156:157], v[0:1]
	v_add_f64 v[251:252], v[186:187], -v[142:143]
	v_add_f64 v[228:229], v[186:187], v[142:143]
	v_add_f64 v[249:250], v[182:183], v[253:254]
	v_mul_f64 v[108:109], v[222:223], s[54:55]
	v_add_f64 v[239:240], v[188:189], -v[148:149]
	v_fma_f64 v[138:139], v[152:153], v[156:157], -v[2:3]
	v_add_f64 v[20:21], v[206:207], -v[136:137]
	v_add_f64 v[214:215], v[206:207], v[136:137]
	v_mul_f64 v[14:15], v[251:252], s[36:37]
	v_add_f64 v[28:29], v[204:205], -v[138:139]
	v_mul_f64 v[184:185], v[28:29], s[12:13]
	s_waitcnt vmcnt(1)
	v_mul_f64 v[0:1], v[66:67], v[94:95]
	v_fma_f64 v[152:153], v[64:65], v[92:93], -v[0:1]
	v_mul_f64 v[0:1], v[64:65], v[94:95]
	v_add_f64 v[243:244], v[190:191], v[152:153]
	v_fma_f64 v[154:155], v[66:67], v[92:93], v[0:1]
	s_waitcnt vmcnt(0)
	v_mul_f64 v[0:1], v[122:123], v[7:8]
	v_add_f64 v[18:19], v[190:191], -v[152:153]
	v_mul_f64 v[66:67], v[28:29], s[26:27]
	v_add_f64 v[245:246], v[196:197], -v[154:155]
	v_fma_f64 v[150:151], v[120:121], v[5:6], -v[0:1]
	v_mul_f64 v[0:1], v[120:121], v[7:8]
	buffer_store_dword v5, off, s[60:63], 0 offset:240 ; 4-byte Folded Spill
	buffer_store_dword v6, off, s[60:63], 0 offset:244 ; 4-byte Folded Spill
	;; [unrolled: 1-line block ×4, first 2 shown]
	v_add_f64 v[10:11], v[196:197], v[154:155]
	v_fma_f64 v[32:33], v[214:215], s[22:23], -v[66:67]
	v_add_f64 v[44:45], v[192:193], -v[150:151]
	v_add_f64 v[220:221], v[192:193], v[150:151]
	v_mul_f64 v[8:9], v[44:45], s[50:51]
	v_fma_f64 v[176:177], v[122:123], v[5:6], v[0:1]
	s_clause 0x1
	global_load_dwordx4 v[120:123], v4, s[2:3] offset:192
	global_load_dwordx4 v[160:163], v4, s[2:3] offset:208
	v_fma_f64 v[6:7], v[214:215], s[4:5], -v[184:185]
	v_add_f64 v[224:225], v[200:201], -v[176:177]
	s_waitcnt vmcnt(1)
	v_mul_f64 v[0:1], v[126:127], v[122:123]
	v_fma_f64 v[140:141], v[124:125], v[120:121], -v[0:1]
	v_mul_f64 v[0:1], v[124:125], v[122:123]
	v_add_f64 v[230:231], v[194:195], v[140:141]
	v_fma_f64 v[126:127], v[126:127], v[120:121], v[0:1]
	s_waitcnt vmcnt(0)
	v_mul_f64 v[0:1], v[130:131], v[162:163]
	v_add_f64 v[56:57], v[194:195], -v[140:141]
	v_add_f64 v[236:237], v[70:71], -v[126:127]
	v_fma_f64 v[4:5], v[128:129], v[160:161], -v[0:1]
	v_mul_f64 v[0:1], v[128:129], v[162:163]
	v_mul_f64 v[128:129], v[20:21], s[12:13]
	v_add_f64 v[54:55], v[70:71], v[126:127]
	v_mul_f64 v[104:105], v[236:237], s[48:49]
	v_add_f64 v[218:219], v[198:199], v[4:5]
	v_fma_f64 v[124:125], v[130:131], v[160:161], v[0:1]
	v_mul_f64 v[0:1], v[60:61], s[20:21]
	v_add_f64 v[130:131], v[204:205], v[138:139]
	buffer_store_dword v0, off, s[60:63], 0 offset:424 ; 4-byte Folded Spill
	buffer_store_dword v1, off, s[60:63], 0 offset:428 ; 4-byte Folded Spill
	v_fma_f64 v[2:3], v[130:131], s[4:5], v[128:129]
	v_add_f64 v[24:25], v[202:203], -v[124:125]
	v_add_f64 v[34:35], v[198:199], -v[4:5]
	v_add_f64 v[234:235], v[202:203], v[124:125]
	v_mul_f64 v[106:107], v[24:25], s[18:19]
	v_mul_f64 v[110:111], v[34:35], s[18:19]
	;; [unrolled: 1-line block ×3, first 2 shown]
	v_fma_f64 v[0:1], v[12:13], s[16:17], v[0:1]
	v_add_f64 v[0:1], v[48:49], v[0:1]
	v_add_f64 v[0:1], v[2:3], v[0:1]
	v_fma_f64 v[2:3], v[68:69], s[16:17], -v[62:63]
	v_add_f64 v[2:3], v[50:51], v[2:3]
	v_add_f64 v[2:3], v[6:7], v[2:3]
	v_fma_f64 v[6:7], v[218:219], s[14:15], v[106:107]
	v_add_f64 v[0:1], v[6:7], v[0:1]
	v_fma_f64 v[6:7], v[234:235], s[14:15], -v[110:111]
	v_add_f64 v[2:3], v[6:7], v[2:3]
	v_fma_f64 v[6:7], v[230:231], s[24:25], v[104:105]
	v_add_f64 v[0:1], v[6:7], v[0:1]
	v_mul_f64 v[6:7], v[56:57], s[48:49]
	buffer_store_dword v6, off, s[60:63], 0 offset:264 ; 4-byte Folded Spill
	buffer_store_dword v7, off, s[60:63], 0 offset:268 ; 4-byte Folded Spill
	v_fma_f64 v[6:7], v[54:55], s[24:25], -v[6:7]
	v_add_f64 v[2:3], v[6:7], v[2:3]
	v_mul_f64 v[6:7], v[224:225], s[50:51]
	buffer_store_dword v6, off, s[60:63], 0 offset:256 ; 4-byte Folded Spill
	buffer_store_dword v7, off, s[60:63], 0 offset:260 ; 4-byte Folded Spill
	;; [unrolled: 1-line block ×4, first 2 shown]
	v_fma_f64 v[6:7], v[220:221], s[28:29], v[6:7]
	v_add_f64 v[6:7], v[6:7], v[0:1]
	v_add_f64 v[0:1], v[200:201], v[176:177]
	v_fma_f64 v[8:9], v[0:1], s[28:29], -v[8:9]
	v_add_f64 v[2:3], v[8:9], v[2:3]
	v_mul_f64 v[8:9], v[245:246], s[26:27]
	buffer_store_dword v8, off, s[60:63], 0 offset:288 ; 4-byte Folded Spill
	buffer_store_dword v9, off, s[60:63], 0 offset:292 ; 4-byte Folded Spill
	v_fma_f64 v[8:9], v[243:244], s[22:23], v[8:9]
	v_add_f64 v[6:7], v[8:9], v[6:7]
	v_mul_f64 v[8:9], v[18:19], s[26:27]
	buffer_store_dword v8, off, s[60:63], 0 offset:304 ; 4-byte Folded Spill
	buffer_store_dword v9, off, s[60:63], 0 offset:308 ; 4-byte Folded Spill
	v_fma_f64 v[8:9], v[10:11], s[22:23], -v[8:9]
	v_add_f64 v[2:3], v[8:9], v[2:3]
	v_mul_f64 v[8:9], v[239:240], s[36:37]
	buffer_store_dword v8, off, s[60:63], 0 offset:296 ; 4-byte Folded Spill
	buffer_store_dword v9, off, s[60:63], 0 offset:300 ; 4-byte Folded Spill
	;; [unrolled: 1-line block ×4, first 2 shown]
	v_fma_f64 v[8:9], v[228:229], s[30:31], v[8:9]
	v_add_f64 v[8:9], v[8:9], v[6:7]
	v_add_f64 v[6:7], v[188:189], v[148:149]
	v_fma_f64 v[14:15], v[6:7], s[30:31], -v[14:15]
	v_add_f64 v[2:3], v[14:15], v[2:3]
	v_fma_f64 v[14:15], v[208:209], s[34:35], v[108:109]
	v_add_f64 v[164:165], v[14:15], v[8:9]
	v_mul_f64 v[8:9], v[210:211], s[54:55]
	buffer_store_dword v8, off, s[60:63], 0 offset:272 ; 4-byte Folded Spill
	buffer_store_dword v9, off, s[60:63], 0 offset:276 ; 4-byte Folded Spill
	v_fma_f64 v[8:9], v[249:250], s[34:35], -v[8:9]
	v_add_f64 v[166:167], v[8:9], v[2:3]
	v_mul_f64 v[8:9], v[20:21], s[48:49]
	buffer_store_dword v8, off, s[60:63], 0 offset:432 ; 4-byte Folded Spill
	buffer_store_dword v9, off, s[60:63], 0 offset:436 ; 4-byte Folded Spill
	v_fma_f64 v[2:3], v[12:13], s[4:5], v[40:41]
	v_add_f64 v[2:3], v[48:49], v[2:3]
	v_fma_f64 v[14:15], v[130:131], s[24:25], v[8:9]
	v_mul_f64 v[8:9], v[28:29], s[48:49]
	buffer_store_dword v8, off, s[60:63], 0 offset:440 ; 4-byte Folded Spill
	buffer_store_dword v9, off, s[60:63], 0 offset:444 ; 4-byte Folded Spill
	v_add_f64 v[2:3], v[14:15], v[2:3]
	v_fma_f64 v[14:15], v[68:69], s[4:5], -v[42:43]
	v_add_f64 v[26:27], v[50:51], v[14:15]
	v_mul_f64 v[14:15], v[210:211], s[44:45]
	v_fma_f64 v[30:31], v[214:215], s[24:25], -v[8:9]
	v_mul_f64 v[8:9], v[24:25], s[26:27]
	buffer_store_dword v8, off, s[60:63], 0 offset:400 ; 4-byte Folded Spill
	buffer_store_dword v9, off, s[60:63], 0 offset:404 ; 4-byte Folded Spill
	v_add_f64 v[26:27], v[30:31], v[26:27]
	v_fma_f64 v[30:31], v[218:219], s[22:23], v[8:9]
	v_mul_f64 v[8:9], v[34:35], s[26:27]
	buffer_store_dword v8, off, s[60:63], 0 offset:408 ; 4-byte Folded Spill
	buffer_store_dword v9, off, s[60:63], 0 offset:412 ; 4-byte Folded Spill
	v_add_f64 v[2:3], v[30:31], v[2:3]
	v_fma_f64 v[30:31], v[234:235], s[22:23], -v[8:9]
	v_mul_f64 v[8:9], v[236:237], s[54:55]
	buffer_store_dword v8, off, s[60:63], 0 offset:376 ; 4-byte Folded Spill
	buffer_store_dword v9, off, s[60:63], 0 offset:380 ; 4-byte Folded Spill
	v_add_f64 v[26:27], v[30:31], v[26:27]
	v_fma_f64 v[30:31], v[230:231], s[34:35], v[8:9]
	v_mul_f64 v[8:9], v[56:57], s[54:55]
	buffer_store_dword v8, off, s[60:63], 0 offset:392 ; 4-byte Folded Spill
	buffer_store_dword v9, off, s[60:63], 0 offset:396 ; 4-byte Folded Spill
	v_add_f64 v[2:3], v[30:31], v[2:3]
	;; [unrolled: 10-line block ×5, first 2 shown]
	v_fma_f64 v[30:31], v[6:7], s[14:15], -v[8:9]
	v_mul_f64 v[8:9], v[222:223], s[44:45]
	v_add_f64 v[26:27], v[30:31], v[26:27]
	v_fma_f64 v[30:31], v[208:209], s[16:17], v[8:9]
	v_add_f64 v[168:169], v[30:31], v[2:3]
	v_fma_f64 v[2:3], v[249:250], s[16:17], -v[14:15]
	v_add_f64 v[170:171], v[2:3], v[26:27]
	v_mul_f64 v[26:27], v[20:21], s[26:27]
	buffer_store_dword v26, off, s[60:63], 0 offset:448 ; 4-byte Folded Spill
	buffer_store_dword v27, off, s[60:63], 0 offset:452 ; 4-byte Folded Spill
	v_fma_f64 v[2:3], v[12:13], s[14:15], v[132:133]
	v_add_f64 v[2:3], v[48:49], v[2:3]
	v_fma_f64 v[30:31], v[130:131], s[22:23], v[26:27]
	v_mul_f64 v[26:27], v[24:25], s[56:57]
	buffer_store_dword v26, off, s[60:63], 0 offset:456 ; 4-byte Folded Spill
	buffer_store_dword v27, off, s[60:63], 0 offset:460 ; 4-byte Folded Spill
	v_add_f64 v[2:3], v[30:31], v[2:3]
	v_fma_f64 v[30:31], v[68:69], s[14:15], -v[134:135]
	v_add_f64 v[30:31], v[50:51], v[30:31]
	v_add_f64 v[32:33], v[32:33], v[30:31]
	v_mul_f64 v[30:31], v[239:240], s[48:49]
	v_fma_f64 v[216:217], v[228:229], s[24:25], v[30:31]
	v_fma_f64 v[36:37], v[218:219], s[34:35], v[26:27]
	v_mul_f64 v[26:27], v[236:237], s[46:47]
	buffer_store_dword v26, off, s[60:63], 0 offset:464 ; 4-byte Folded Spill
	buffer_store_dword v27, off, s[60:63], 0 offset:468 ; 4-byte Folded Spill
	v_add_f64 v[2:3], v[36:37], v[2:3]
	v_fma_f64 v[36:37], v[234:235], s[34:35], -v[64:65]
	v_add_f64 v[36:37], v[36:37], v[32:33]
	v_fma_f64 v[32:33], v[230:231], s[28:29], v[26:27]
	v_mul_f64 v[26:27], v[56:57], s[46:47]
	v_add_f64 v[172:173], v[32:33], v[2:3]
	v_fma_f64 v[2:3], v[54:55], s[28:29], -v[26:27]
	v_mul_f64 v[32:33], v[251:252], s[48:49]
	v_add_f64 v[174:175], v[2:3], v[36:37]
	v_mul_f64 v[2:3], v[224:225], s[42:43]
	buffer_store_dword v2, off, s[60:63], 0 offset:416 ; 4-byte Folded Spill
	buffer_store_dword v3, off, s[60:63], 0 offset:420 ; 4-byte Folded Spill
	v_fma_f64 v[58:59], v[6:7], s[24:25], -v[32:33]
	v_fma_f64 v[36:37], v[220:221], s[4:5], v[2:3]
	v_mul_f64 v[2:3], v[245:246], s[20:21]
	buffer_store_dword v2, off, s[60:63], 0 offset:368 ; 4-byte Folded Spill
	buffer_store_dword v3, off, s[60:63], 0 offset:372 ; 4-byte Folded Spill
	v_add_f64 v[172:173], v[36:37], v[172:173]
	v_mul_f64 v[36:37], v[44:45], s[42:43]
	v_fma_f64 v[212:213], v[0:1], s[4:5], -v[36:37]
	v_add_f64 v[174:175], v[212:213], v[174:175]
	v_fma_f64 v[212:213], v[243:244], s[16:17], v[2:3]
	v_mul_f64 v[2:3], v[18:19], s[20:21]
	buffer_store_dword v2, off, s[60:63], 0 offset:384 ; 4-byte Folded Spill
	buffer_store_dword v3, off, s[60:63], 0 offset:388 ; 4-byte Folded Spill
	v_add_f64 v[172:173], v[212:213], v[172:173]
	s_waitcnt_vscnt null, 0x0
	s_barrier
	buffer_gl0_inv
	v_add_f64 v[172:173], v[216:217], v[172:173]
	v_fma_f64 v[212:213], v[10:11], s[16:17], -v[2:3]
	v_mul_f64 v[2:3], v[222:223], s[36:37]
	v_add_f64 v[174:175], v[212:213], v[174:175]
	v_mul_f64 v[212:213], v[210:211], s[36:37]
	v_add_f64 v[58:59], v[58:59], v[174:175]
	v_fma_f64 v[174:175], v[208:209], s[30:31], v[2:3]
	v_add_f64 v[172:173], v[174:175], v[172:173]
	v_fma_f64 v[174:175], v[249:250], s[30:31], -v[212:213]
	v_add_f64 v[174:175], v[174:175], v[58:59]
	s_and_saveexec_b32 s1, s0
	s_cbranch_execz .LBB0_11
; %bb.10:
	v_mul_f64 v[58:59], v[68:69], s[34:35]
	buffer_store_dword v128, off, s[60:63], 0 offset:660 ; 4-byte Folded Spill
	buffer_store_dword v129, off, s[60:63], 0 offset:664 ; 4-byte Folded Spill
	;; [unrolled: 1-line block ×4, first 2 shown]
	v_mul_f64 v[212:213], v[214:215], s[16:17]
	buffer_store_dword v226, off, s[60:63], 0 offset:508 ; 4-byte Folded Spill
	buffer_store_dword v227, off, s[60:63], 0 offset:512 ; 4-byte Folded Spill
	;; [unrolled: 1-line block ×4, first 2 shown]
	v_mul_f64 v[232:233], v[20:21], s[44:45]
	buffer_store_dword v241, off, s[60:63], 0 offset:480 ; 4-byte Folded Spill
	buffer_store_dword v242, off, s[60:63], 0 offset:484 ; 4-byte Folded Spill
	;; [unrolled: 1-line block ×3, first 2 shown]
	v_mov_b32_e32 v47, v247
	buffer_store_dword v52, off, s[60:63], 0 offset:516 ; 4-byte Folded Spill
	buffer_store_dword v53, off, s[60:63], 0 offset:520 ; 4-byte Folded Spill
	;; [unrolled: 1-line block ×6, first 2 shown]
	s_mov_b32 s53, 0x3fe9895b
	s_mov_b32 s52, s26
	buffer_store_dword v4, off, s[60:63], 0 offset:588 ; 4-byte Folded Spill
	buffer_store_dword v5, off, s[60:63], 0 offset:592 ; 4-byte Folded Spill
	;; [unrolled: 1-line block ×14, first 2 shown]
	v_fma_f64 v[128:129], v[38:39], s[56:57], v[58:59]
	s_mov_b32 s59, 0x3fefdd0d
	s_mov_b32 s58, s48
	v_fma_f64 v[216:217], v[28:29], s[20:21], v[212:213]
	buffer_store_dword v32, off, s[60:63], 0 offset:628 ; 4-byte Folded Spill
	buffer_store_dword v33, off, s[60:63], 0 offset:632 ; 4-byte Folded Spill
	;; [unrolled: 1-line block ×4, first 2 shown]
	v_fma_f64 v[241:242], v[130:131], s[16:17], v[232:233]
	v_add_f64 v[16:17], v[48:49], v[16:17]
	v_add_f64 v[22:23], v[50:51], v[22:23]
	;; [unrolled: 1-line block ×6, first 2 shown]
	v_mul_f64 v[216:217], v[60:61], s[54:55]
	v_add_f64 v[16:17], v[16:17], v[198:199]
	v_add_f64 v[22:23], v[22:23], v[202:203]
	v_fma_f64 v[226:227], v[12:13], s[34:35], v[216:217]
	v_add_f64 v[16:17], v[16:17], v[194:195]
	v_add_f64 v[22:23], v[22:23], v[70:71]
	;; [unrolled: 1-line block ×6, first 2 shown]
	v_mul_f64 v[241:242], v[234:235], s[30:31]
	v_add_f64 v[16:17], v[16:17], v[190:191]
	v_add_f64 v[22:23], v[22:23], v[196:197]
	v_fma_f64 v[247:248], v[34:35], s[40:41], v[241:242]
	v_add_f64 v[16:17], v[16:17], v[186:187]
	v_add_f64 v[22:23], v[22:23], v[188:189]
	;; [unrolled: 1-line block ×3, first 2 shown]
	v_mul_f64 v[247:248], v[24:25], s[36:37]
	v_add_f64 v[16:17], v[16:17], v[180:181]
	v_add_f64 v[22:23], v[22:23], v[182:183]
	v_fma_f64 v[52:53], v[218:219], s[30:31], v[247:248]
	v_add_f64 v[16:17], v[16:17], v[178:179]
	v_add_f64 v[52:53], v[52:53], v[226:227]
	v_mul_f64 v[226:227], v[54:55], s[4:5]
	v_add_f64 v[16:17], v[16:17], v[142:143]
	v_fma_f64 v[253:254], v[56:57], s[12:13], v[226:227]
	v_add_f64 v[16:17], v[16:17], v[152:153]
	v_add_f64 v[128:129], v[253:254], v[128:129]
	v_mul_f64 v[253:254], v[236:237], s[42:43]
	v_add_f64 v[16:17], v[16:17], v[150:151]
	v_fma_f64 v[2:3], v[230:231], s[4:5], v[253:254]
	v_add_f64 v[2:3], v[2:3], v[52:53]
	v_mul_f64 v[52:53], v[0:1], s[22:23]
	v_fma_f64 v[4:5], v[44:45], s[52:53], v[52:53]
	v_fma_f64 v[52:53], v[44:45], s[26:27], v[52:53]
	v_add_f64 v[4:5], v[4:5], v[128:129]
	v_mul_f64 v[128:129], v[224:225], s[26:27]
	v_fma_f64 v[8:9], v[220:221], s[22:23], v[128:129]
	v_add_f64 v[2:3], v[8:9], v[2:3]
	v_mul_f64 v[8:9], v[10:11], s[14:15]
	v_fma_f64 v[124:125], v[18:19], s[18:19], v[8:9]
	v_fma_f64 v[8:9], v[18:19], s[38:39], v[8:9]
	v_add_f64 v[4:5], v[124:125], v[4:5]
	v_mul_f64 v[124:125], v[245:246], s[38:39]
	v_fma_f64 v[126:127], v[243:244], s[14:15], v[124:125]
	v_add_f64 v[2:3], v[126:127], v[2:3]
	v_mul_f64 v[126:127], v[6:7], s[28:29]
	;; [unrolled: 3-line block ×3, first 2 shown]
	v_fma_f64 v[136:137], v[228:229], s[28:29], v[14:15]
	v_fma_f64 v[14:15], v[228:229], s[28:29], -v[14:15]
	v_add_f64 v[2:3], v[136:137], v[2:3]
	v_mul_f64 v[136:137], v[249:250], s[24:25]
	v_fma_f64 v[138:139], v[210:211], s[48:49], v[136:137]
	v_add_f64 v[32:33], v[138:139], v[4:5]
	v_mul_f64 v[4:5], v[222:223], s[58:59]
	v_fma_f64 v[138:139], v[208:209], s[24:25], v[4:5]
	v_fma_f64 v[4:5], v[208:209], s[24:25], -v[4:5]
	v_add_f64 v[30:31], v[138:139], v[2:3]
	v_fma_f64 v[2:3], v[38:39], s[54:55], v[58:59]
	v_fma_f64 v[58:59], v[28:29], s[44:45], v[212:213]
	v_fma_f64 v[138:139], v[130:131], s[16:17], -v[232:233]
	buffer_store_dword v30, off, s[60:63], 0 offset:492 ; 4-byte Folded Spill
	buffer_store_dword v31, off, s[60:63], 0 offset:496 ; 4-byte Folded Spill
	;; [unrolled: 1-line block ×4, first 2 shown]
	v_add_f64 v[2:3], v[50:51], v[2:3]
	v_add_f64 v[2:3], v[58:59], v[2:3]
	v_fma_f64 v[58:59], v[12:13], s[34:35], -v[216:217]
	v_add_f64 v[58:59], v[48:49], v[58:59]
	v_add_f64 v[58:59], v[138:139], v[58:59]
	v_fma_f64 v[138:139], v[34:35], s[36:37], v[241:242]
	v_add_f64 v[2:3], v[138:139], v[2:3]
	v_fma_f64 v[138:139], v[218:219], s[30:31], -v[247:248]
	v_add_f64 v[58:59], v[138:139], v[58:59]
	v_fma_f64 v[138:139], v[56:57], s[42:43], v[226:227]
	v_add_f64 v[2:3], v[138:139], v[2:3]
	v_fma_f64 v[138:139], v[230:231], s[4:5], -v[253:254]
	v_add_f64 v[2:3], v[52:53], v[2:3]
	v_add_f64 v[58:59], v[138:139], v[58:59]
	v_fma_f64 v[52:53], v[220:221], s[22:23], -v[128:129]
	v_add_f64 v[2:3], v[8:9], v[2:3]
	v_fma_f64 v[8:9], v[243:244], s[14:15], -v[124:125]
	v_add_f64 v[52:53], v[52:53], v[58:59]
	v_mul_f64 v[58:59], v[20:21], s[38:39]
	v_add_f64 v[8:9], v[8:9], v[52:53]
	v_fma_f64 v[52:53], v[251:252], s[50:51], v[126:127]
	v_fma_f64 v[124:125], v[130:131], s[14:15], v[58:59]
	v_add_f64 v[8:9], v[14:15], v[8:9]
	v_add_f64 v[2:3], v[52:53], v[2:3]
	v_fma_f64 v[14:15], v[210:211], s[58:59], v[136:137]
	v_add_f64 v[30:31], v[4:5], v[8:9]
	v_mul_f64 v[8:9], v[214:215], s[14:15]
	v_add_f64 v[32:33], v[14:15], v[2:3]
	v_mul_f64 v[2:3], v[68:69], s[30:31]
	buffer_store_dword v30, off, s[60:63], 0 offset:532 ; 4-byte Folded Spill
	buffer_store_dword v31, off, s[60:63], 0 offset:536 ; 4-byte Folded Spill
	buffer_store_dword v32, off, s[60:63], 0 offset:540 ; 4-byte Folded Spill
	buffer_store_dword v33, off, s[60:63], 0 offset:544 ; 4-byte Folded Spill
	v_fma_f64 v[4:5], v[38:39], s[40:41], v[2:3]
	v_fma_f64 v[14:15], v[28:29], s[18:19], v[8:9]
	;; [unrolled: 1-line block ×4, first 2 shown]
	v_add_f64 v[4:5], v[50:51], v[4:5]
	v_add_f64 v[2:3], v[50:51], v[2:3]
	;; [unrolled: 1-line block ×3, first 2 shown]
	v_mul_f64 v[14:15], v[60:61], s[36:37]
	v_add_f64 v[2:3], v[8:9], v[2:3]
	v_fma_f64 v[52:53], v[12:13], s[30:31], v[14:15]
	v_fma_f64 v[8:9], v[12:13], s[30:31], -v[14:15]
	v_fma_f64 v[14:15], v[130:131], s[14:15], -v[58:59]
	v_add_f64 v[52:53], v[48:49], v[52:53]
	v_add_f64 v[8:9], v[48:49], v[8:9]
	;; [unrolled: 1-line block ×3, first 2 shown]
	v_mul_f64 v[124:125], v[234:235], s[24:25]
	v_add_f64 v[8:9], v[14:15], v[8:9]
	v_fma_f64 v[126:127], v[34:35], s[58:59], v[124:125]
	v_fma_f64 v[14:15], v[34:35], s[48:49], v[124:125]
	v_mul_f64 v[124:125], v[12:13], s[14:15]
	v_add_f64 v[4:5], v[126:127], v[4:5]
	v_mul_f64 v[126:127], v[24:25], s[48:49]
	v_add_f64 v[2:3], v[14:15], v[2:3]
	v_add_f64 v[124:125], v[124:125], -v[132:133]
	v_fma_f64 v[128:129], v[218:219], s[24:25], v[126:127]
	v_fma_f64 v[14:15], v[218:219], s[24:25], -v[126:127]
	v_mul_f64 v[126:127], v[68:69], s[4:5]
	v_add_f64 v[124:125], v[48:49], v[124:125]
	v_add_f64 v[52:53], v[128:129], v[52:53]
	v_mul_f64 v[128:129], v[54:55], s[22:23]
	v_add_f64 v[8:9], v[14:15], v[8:9]
	v_add_f64 v[42:43], v[42:43], v[126:127]
	v_mul_f64 v[126:127], v[12:13], s[4:5]
	v_fma_f64 v[136:137], v[56:57], s[26:27], v[128:129]
	v_fma_f64 v[14:15], v[56:57], s[52:53], v[128:129]
	v_add_f64 v[42:43], v[50:51], v[42:43]
	v_add_f64 v[40:41], v[126:127], -v[40:41]
	v_mul_f64 v[126:127], v[60:61], s[50:51]
	v_add_f64 v[4:5], v[136:137], v[4:5]
	v_mul_f64 v[136:137], v[236:237], s[52:53]
	v_add_f64 v[2:3], v[14:15], v[2:3]
	v_add_f64 v[40:41], v[48:49], v[40:41]
	v_fma_f64 v[132:133], v[12:13], s[28:29], v[126:127]
	v_fma_f64 v[126:127], v[12:13], s[28:29], -v[126:127]
	v_fma_f64 v[138:139], v[230:231], s[22:23], v[136:137]
	v_fma_f64 v[14:15], v[230:231], s[22:23], -v[136:137]
	v_add_f64 v[132:133], v[48:49], v[132:133]
	v_add_f64 v[126:127], v[48:49], v[126:127]
	;; [unrolled: 1-line block ×3, first 2 shown]
	v_mul_f64 v[138:139], v[0:1], s[16:17]
	v_add_f64 v[8:9], v[14:15], v[8:9]
	v_fma_f64 v[212:213], v[44:45], s[44:45], v[138:139]
	v_fma_f64 v[14:15], v[44:45], s[20:21], v[138:139]
	v_add_f64 v[4:5], v[212:213], v[4:5]
	v_mul_f64 v[212:213], v[224:225], s[20:21]
	v_add_f64 v[2:3], v[14:15], v[2:3]
	v_fma_f64 v[216:217], v[220:221], s[16:17], v[212:213]
	v_fma_f64 v[14:15], v[220:221], s[16:17], -v[212:213]
	v_add_f64 v[52:53], v[216:217], v[52:53]
	v_mul_f64 v[216:217], v[10:11], s[34:35]
	v_add_f64 v[8:9], v[14:15], v[8:9]
	v_fma_f64 v[226:227], v[18:19], s[56:57], v[216:217]
	v_fma_f64 v[14:15], v[18:19], s[54:55], v[216:217]
	v_add_f64 v[4:5], v[226:227], v[4:5]
	v_mul_f64 v[226:227], v[245:246], s[54:55]
	v_add_f64 v[2:3], v[14:15], v[2:3]
	v_fma_f64 v[232:233], v[243:244], s[34:35], v[226:227]
	v_fma_f64 v[14:15], v[243:244], s[34:35], -v[226:227]
	v_add_f64 v[52:53], v[232:233], v[52:53]
	;; [unrolled: 10-line block ×3, first 2 shown]
	v_mul_f64 v[247:248], v[249:250], s[28:29]
	v_add_f64 v[8:9], v[14:15], v[8:9]
	v_fma_f64 v[253:254], v[210:211], s[46:47], v[247:248]
	v_fma_f64 v[14:15], v[210:211], s[50:51], v[247:248]
	v_add_f64 v[32:33], v[253:254], v[4:5]
	v_mul_f64 v[4:5], v[222:223], s[50:51]
	v_fma_f64 v[253:254], v[208:209], s[28:29], v[4:5]
	v_fma_f64 v[4:5], v[208:209], s[28:29], -v[4:5]
	v_add_f64 v[30:31], v[253:254], v[52:53]
	buffer_store_dword v30, off, s[60:63], 0 offset:596 ; 4-byte Folded Spill
	buffer_store_dword v31, off, s[60:63], 0 offset:600 ; 4-byte Folded Spill
	;; [unrolled: 1-line block ×4, first 2 shown]
	v_add_f64 v[32:33], v[14:15], v[2:3]
	v_add_f64 v[30:31], v[4:5], v[8:9]
	buffer_store_dword v30, off, s[60:63], 0 offset:644 ; 4-byte Folded Spill
	buffer_store_dword v31, off, s[60:63], 0 offset:648 ; 4-byte Folded Spill
	;; [unrolled: 1-line block ×4, first 2 shown]
	s_clause 0x1
	buffer_load_dword v30, off, s[60:63], 0 offset:424
	buffer_load_dword v31, off, s[60:63], 0 offset:428
	v_mul_f64 v[2:3], v[68:69], s[22:23]
	v_mul_f64 v[8:9], v[68:69], s[28:29]
	;; [unrolled: 1-line block ×3, first 2 shown]
	v_fma_f64 v[4:5], v[38:39], s[52:53], v[2:3]
	v_fma_f64 v[2:3], v[38:39], s[26:27], v[2:3]
	;; [unrolled: 1-line block ×6, first 2 shown]
	v_mul_f64 v[52:53], v[68:69], s[14:15]
	v_mul_f64 v[68:69], v[68:69], s[16:17]
	v_add_f64 v[4:5], v[50:51], v[4:5]
	v_add_f64 v[2:3], v[50:51], v[2:3]
	;; [unrolled: 1-line block ×8, first 2 shown]
	v_mul_f64 v[68:69], v[60:61], s[26:27]
	v_mul_f64 v[60:61], v[60:61], s[48:49]
	v_add_f64 v[52:53], v[50:51], v[52:53]
	v_add_f64 v[62:63], v[50:51], v[62:63]
	v_fma_f64 v[128:129], v[12:13], s[22:23], v[68:69]
	v_fma_f64 v[68:69], v[12:13], s[22:23], -v[68:69]
	v_fma_f64 v[134:135], v[12:13], s[24:25], v[60:61]
	v_fma_f64 v[60:61], v[12:13], s[24:25], -v[60:61]
	v_mul_f64 v[12:13], v[12:13], s[16:17]
	v_add_f64 v[128:129], v[48:49], v[128:129]
	v_add_f64 v[68:69], v[48:49], v[68:69]
	;; [unrolled: 1-line block ×4, first 2 shown]
	s_waitcnt vmcnt(0)
	v_add_f64 v[12:13], v[12:13], -v[30:31]
	v_add_f64 v[12:13], v[48:49], v[12:13]
	v_mul_f64 v[48:49], v[214:215], s[28:29]
	v_fma_f64 v[50:51], v[28:29], s[50:51], v[48:49]
	v_add_f64 v[4:5], v[50:51], v[4:5]
	v_mul_f64 v[50:51], v[234:235], s[16:17]
	v_fma_f64 v[136:137], v[34:35], s[44:45], v[50:51]
	;; [unrolled: 3-line block ×6, first 2 shown]
	v_add_f64 v[4:5], v[226:227], v[4:5]
	v_mul_f64 v[226:227], v[20:21], s[46:47]
	buffer_store_dword v4, off, s[60:63], 0 offset:424 ; 4-byte Folded Spill
	buffer_store_dword v5, off, s[60:63], 0 offset:428 ; 4-byte Folded Spill
	v_fma_f64 v[232:233], v[130:131], s[28:29], v[226:227]
	buffer_store_dword v108, off, s[60:63], 0 offset:676 ; 4-byte Folded Spill
	buffer_store_dword v109, off, s[60:63], 0 offset:680 ; 4-byte Folded Spill
	v_mov_b32_e32 v108, v140
	v_mov_b32_e32 v109, v141
	v_add_f64 v[16:17], v[16:17], v[108:109]
	v_add_f64 v[128:129], v[232:233], v[128:129]
	v_mul_f64 v[232:233], v[24:25], s[20:21]
	v_fma_f64 v[241:242], v[218:219], s[16:17], v[232:233]
	v_add_f64 v[128:129], v[241:242], v[128:129]
	v_mul_f64 v[241:242], v[236:237], s[36:37]
	v_fma_f64 v[247:248], v[230:231], s[30:31], v[241:242]
	;; [unrolled: 3-line block ×5, first 2 shown]
	v_add_f64 v[140:141], v[140:141], v[4:5]
	v_fma_f64 v[4:5], v[28:29], s[46:47], v[48:49]
	v_fma_f64 v[48:49], v[218:219], s[16:17], -v[232:233]
	v_add_f64 v[2:3], v[4:5], v[2:3]
	v_fma_f64 v[4:5], v[34:35], s[20:21], v[50:51]
	v_add_f64 v[2:3], v[4:5], v[2:3]
	v_fma_f64 v[4:5], v[56:57], s[36:37], v[136:137]
	;; [unrolled: 2-line block ×5, first 2 shown]
	v_add_f64 v[4:5], v[4:5], v[2:3]
	v_fma_f64 v[2:3], v[130:131], s[28:29], -v[226:227]
	v_add_f64 v[2:3], v[2:3], v[68:69]
	v_add_f64 v[2:3], v[48:49], v[2:3]
	v_fma_f64 v[48:49], v[230:231], s[30:31], -v[241:242]
	v_add_f64 v[2:3], v[48:49], v[2:3]
	v_fma_f64 v[48:49], v[220:221], s[24:25], -v[247:248]
	v_mov_b32_e32 v247, v47
	buffer_load_dword v47, off, s[60:63], 0 offset:488 ; 4-byte Folded Reload
	v_add_f64 v[2:3], v[48:49], v[2:3]
	v_fma_f64 v[48:49], v[243:244], s[4:5], -v[253:254]
	v_add_f64 v[2:3], v[48:49], v[2:3]
	v_fma_f64 v[48:49], v[228:229], s[34:35], -v[128:129]
	v_add_f64 v[48:49], v[48:49], v[2:3]
	v_mul_f64 v[2:3], v[214:215], s[30:31]
	v_fma_f64 v[50:51], v[28:29], s[36:37], v[2:3]
	v_fma_f64 v[2:3], v[28:29], s[40:41], v[2:3]
	v_add_f64 v[14:15], v[50:51], v[14:15]
	v_mul_f64 v[50:51], v[234:235], s[4:5]
	v_add_f64 v[2:3], v[2:3], v[8:9]
	v_fma_f64 v[68:69], v[34:35], s[12:13], v[50:51]
	v_fma_f64 v[8:9], v[34:35], s[42:43], v[50:51]
	v_add_f64 v[14:15], v[68:69], v[14:15]
	v_mul_f64 v[68:69], v[54:55], s[14:15]
	v_add_f64 v[2:3], v[8:9], v[2:3]
	;; [unrolled: 5-line block ×5, first 2 shown]
	v_mul_f64 v[8:9], v[6:7], s[16:17]
	v_mul_f64 v[20:21], v[20:21], s[54:55]
	v_fma_f64 v[212:213], v[130:131], s[30:31], v[138:139]
	v_fma_f64 v[50:51], v[251:252], s[20:21], v[8:9]
	;; [unrolled: 1-line block ×3, first 2 shown]
	v_add_f64 v[132:133], v[212:213], v[132:133]
	v_mul_f64 v[212:213], v[24:25], s[42:43]
	v_add_f64 v[50:51], v[50:51], v[2:3]
	v_fma_f64 v[2:3], v[130:131], s[30:31], -v[138:139]
	v_mul_f64 v[24:25], v[24:25], s[46:47]
	v_fma_f64 v[216:217], v[218:219], s[4:5], v[212:213]
	v_fma_f64 v[68:69], v[218:219], s[4:5], -v[212:213]
	v_add_f64 v[2:3], v[2:3], v[126:127]
	v_add_f64 v[132:133], v[216:217], v[132:133]
	v_mul_f64 v[216:217], v[236:237], s[18:19]
	v_add_f64 v[2:3], v[68:69], v[2:3]
	v_fma_f64 v[226:227], v[230:231], s[14:15], v[216:217]
	v_fma_f64 v[68:69], v[230:231], s[14:15], -v[216:217]
	v_add_f64 v[132:133], v[226:227], v[132:133]
	v_mul_f64 v[226:227], v[224:225], s[54:55]
	v_add_f64 v[2:3], v[68:69], v[2:3]
	v_fma_f64 v[232:233], v[220:221], s[34:35], v[226:227]
	v_fma_f64 v[68:69], v[220:221], s[34:35], -v[226:227]
	v_add_f64 v[132:133], v[232:233], v[132:133]
	v_mul_f64 v[232:233], v[245:246], s[58:59]
	v_add_f64 v[2:3], v[68:69], v[2:3]
	v_fma_f64 v[68:69], v[243:244], s[24:25], -v[232:233]
	v_fma_f64 v[241:242], v[243:244], s[24:25], v[232:233]
	v_add_f64 v[2:3], v[68:69], v[2:3]
	v_mul_f64 v[68:69], v[214:215], s[34:35]
	v_add_f64 v[132:133], v[241:242], v[132:133]
	s_clause 0x3
	buffer_load_dword v242, off, s[60:63], 0 offset:484
	buffer_load_dword v241, off, s[60:63], 0 offset:480
	;; [unrolled: 1-line block ×4, first 2 shown]
	v_fma_f64 v[126:127], v[28:29], s[56:57], v[68:69]
	v_fma_f64 v[28:29], v[28:29], s[54:55], v[68:69]
	;; [unrolled: 1-line block ×3, first 2 shown]
	v_fma_f64 v[20:21], v[130:131], s[34:35], -v[20:21]
	v_add_f64 v[58:59], v[126:127], v[58:59]
	v_mul_f64 v[126:127], v[234:235], s[28:29]
	v_add_f64 v[28:29], v[28:29], v[38:39]
	v_add_f64 v[20:21], v[20:21], v[60:61]
	v_mul_f64 v[38:39], v[54:55], s[16:17]
	v_add_f64 v[68:69], v[68:69], v[134:135]
	v_mul_f64 v[60:61], v[0:1], s[14:15]
	v_fma_f64 v[128:129], v[34:35], s[50:51], v[126:127]
	v_fma_f64 v[34:35], v[34:35], s[46:47], v[126:127]
	;; [unrolled: 1-line block ×4, first 2 shown]
	v_mul_f64 v[56:57], v[234:235], s[34:35]
	v_add_f64 v[58:59], v[128:129], v[58:59]
	v_add_f64 v[28:29], v[34:35], v[28:29]
	v_mul_f64 v[34:35], v[214:215], s[22:23]
	v_mul_f64 v[128:129], v[222:223], s[38:39]
	v_add_f64 v[56:57], v[64:65], v[56:57]
	v_fma_f64 v[64:65], v[44:45], s[38:39], v[60:61]
	v_fma_f64 v[44:45], v[44:45], s[18:19], v[60:61]
	v_mul_f64 v[60:61], v[214:215], s[4:5]
	v_add_f64 v[28:29], v[38:39], v[28:29]
	v_add_f64 v[34:35], v[66:67], v[34:35]
	v_mul_f64 v[38:39], v[130:131], s[24:25]
	v_mul_f64 v[66:67], v[130:131], s[22:23]
	v_add_f64 v[60:61], v[184:185], v[60:61]
	v_add_f64 v[28:29], v[44:45], v[28:29]
	v_add_f64 v[34:35], v[34:35], v[52:53]
	v_fma_f64 v[52:53], v[218:219], s[28:29], v[24:25]
	v_fma_f64 v[24:25], v[218:219], s[28:29], -v[24:25]
	v_mul_f64 v[44:45], v[10:11], s[16:17]
	v_add_f64 v[60:61], v[60:61], v[62:63]
	v_mul_f64 v[62:63], v[218:219], s[14:15]
	v_add_f64 v[34:35], v[56:57], v[34:35]
	v_mul_f64 v[56:57], v[230:231], s[28:29]
	v_add_f64 v[20:21], v[24:25], v[20:21]
	v_mul_f64 v[24:25], v[0:1], s[4:5]
	v_add_f64 v[52:53], v[52:53], v[68:69]
	v_add_f64 v[62:63], v[62:63], -v[106:107]
	v_add_f64 v[24:25], v[36:37], v[24:25]
	v_mul_f64 v[36:37], v[54:55], s[28:29]
	v_add_f64 v[32:33], v[26:27], v[36:37]
	s_clause 0x1
	buffer_load_dword v26, off, s[60:63], 0 offset:440
	buffer_load_dword v27, off, s[60:63], 0 offset:444
	v_mul_f64 v[36:37], v[214:215], s[24:25]
	s_waitcnt vmcnt(0)
	v_add_f64 v[36:37], v[26:27], v[36:37]
	s_clause 0x1
	buffer_load_dword v26, off, s[60:63], 0 offset:432
	buffer_load_dword v27, off, s[60:63], 0 offset:436
	v_add_f64 v[36:37], v[36:37], v[42:43]
	v_mul_f64 v[42:43], v[218:219], s[22:23]
	s_waitcnt vmcnt(0)
	v_add_f64 v[38:39], v[38:39], -v[26:27]
	s_clause 0x1
	buffer_load_dword v26, off, s[60:63], 0 offset:464
	buffer_load_dword v27, off, s[60:63], 0 offset:468
	v_add_f64 v[38:39], v[38:39], v[40:41]
	v_mul_f64 v[40:41], v[234:235], s[14:15]
	v_add_f64 v[40:41], v[110:111], v[40:41]
	v_add_f64 v[40:41], v[40:41], v[60:61]
	s_waitcnt vmcnt(0)
	v_add_f64 v[56:57], v[56:57], -v[26:27]
	s_clause 0x5
	buffer_load_dword v26, off, s[60:63], 0 offset:448
	buffer_load_dword v27, off, s[60:63], 0 offset:452
	;; [unrolled: 1-line block ×6, first 2 shown]
	s_waitcnt vmcnt(4)
	v_add_f64 v[26:27], v[66:67], -v[26:27]
	v_mul_f64 v[66:67], v[218:219], s[34:35]
	v_add_f64 v[26:27], v[26:27], v[124:125]
	s_waitcnt vmcnt(2)
	v_add_f64 v[30:31], v[66:67], -v[30:31]
	v_mul_f64 v[66:67], v[130:131], s[4:5]
	v_mul_f64 v[124:125], v[249:250], s[4:5]
	v_add_f64 v[26:27], v[30:31], v[26:27]
	s_waitcnt vmcnt(0)
	v_add_f64 v[66:67], v[66:67], -v[68:69]
	s_clause 0x3
	buffer_load_dword v68, off, s[60:63], 0 offset:668
	buffer_load_dword v69, off, s[60:63], 0 offset:672
	;; [unrolled: 1-line block ×4, first 2 shown]
	v_add_f64 v[30:31], v[32:33], v[34:35]
	v_mul_f64 v[32:33], v[220:221], s[4:5]
	v_fma_f64 v[134:135], v[210:211], s[42:43], v[124:125]
	v_fma_f64 v[124:125], v[210:211], s[12:13], v[124:125]
	v_add_f64 v[26:27], v[56:57], v[26:27]
	v_add_f64 v[12:13], v[66:67], v[12:13]
	v_mul_f64 v[66:67], v[54:55], s[34:35]
	v_mul_f64 v[56:57], v[224:225], s[18:19]
	v_add_f64 v[24:25], v[24:25], v[30:31]
	v_mul_f64 v[30:31], v[243:244], s[16:17]
	v_add_f64 v[12:13], v[62:63], v[12:13]
	s_waitcnt vmcnt(2)
	v_add_f64 v[22:23], v[22:23], v[68:69]
	v_mul_f64 v[68:69], v[234:235], s[22:23]
	v_add_f64 v[22:23], v[22:23], v[148:149]
	s_waitcnt vmcnt(0)
	v_add_f64 v[68:69], v[70:71], v[68:69]
	s_clause 0x1
	buffer_load_dword v70, off, s[60:63], 0 offset:400
	buffer_load_dword v71, off, s[60:63], 0 offset:404
	v_add_f64 v[22:23], v[22:23], v[154:155]
	v_add_f64 v[36:37], v[68:69], v[36:37]
	v_mul_f64 v[68:69], v[230:231], s[34:35]
	v_add_f64 v[22:23], v[22:23], v[176:177]
	s_waitcnt vmcnt(0)
	v_add_f64 v[42:43], v[42:43], -v[70:71]
	s_clause 0x1
	buffer_load_dword v70, off, s[60:63], 0 offset:392
	buffer_load_dword v71, off, s[60:63], 0 offset:396
	v_add_f64 v[38:39], v[42:43], v[38:39]
	v_mul_f64 v[42:43], v[54:55], s[24:25]
	s_waitcnt vmcnt(0)
	v_add_f64 v[66:67], v[70:71], v[66:67]
	s_clause 0x7
	buffer_load_dword v70, off, s[60:63], 0 offset:376
	buffer_load_dword v71, off, s[60:63], 0 offset:380
	;; [unrolled: 1-line block ×8, first 2 shown]
	v_add_f64 v[36:37], v[66:67], v[36:37]
	s_clause 0x1
	buffer_load_dword v66, off, s[60:63], 0 offset:352
	buffer_load_dword v67, off, s[60:63], 0 offset:356
	s_waitcnt vmcnt(8)
	v_add_f64 v[68:69], v[68:69], -v[70:71]
	s_waitcnt vmcnt(6)
	v_add_f64 v[42:43], v[54:55], v[42:43]
	s_waitcnt vmcnt(4)
	v_add_f64 v[32:33], v[32:33], -v[34:35]
	v_mul_f64 v[34:35], v[0:1], s[30:31]
	v_mul_f64 v[0:1], v[0:1], s[28:29]
	;; [unrolled: 1-line block ×4, first 2 shown]
	v_add_f64 v[38:39], v[68:69], v[38:39]
	v_add_f64 v[40:41], v[42:43], v[40:41]
	v_mul_f64 v[42:43], v[220:221], s[28:29]
	s_waitcnt vmcnt(2)
	v_add_f64 v[34:35], v[62:63], v[34:35]
	v_mul_f64 v[62:63], v[220:221], s[30:31]
	v_fma_f64 v[60:61], v[230:231], s[16:17], v[54:55]
	v_fma_f64 v[54:55], v[230:231], s[16:17], -v[54:55]
	v_add_f64 v[70:71], v[70:71], -v[104:105]
	v_add_f64 v[26:27], v[32:33], v[26:27]
	v_add_f64 v[34:35], v[34:35], v[36:37]
	s_waitcnt vmcnt(0)
	v_add_f64 v[62:63], v[62:63], -v[66:67]
	s_clause 0x1
	buffer_load_dword v66, off, s[60:63], 0 offset:280
	buffer_load_dword v67, off, s[60:63], 0 offset:284
	v_add_f64 v[52:53], v[60:61], v[52:53]
	v_mul_f64 v[60:61], v[10:11], s[30:31]
	v_mul_f64 v[36:37], v[243:244], s[28:29]
	v_add_f64 v[20:21], v[54:55], v[20:21]
	v_add_f64 v[54:55], v[126:127], v[58:59]
	v_fma_f64 v[58:59], v[220:221], s[14:15], -v[56:57]
	v_fma_f64 v[56:57], v[220:221], s[14:15], v[56:57]
	v_add_f64 v[12:13], v[70:71], v[12:13]
	v_mul_f64 v[126:127], v[222:223], s[42:43]
	v_add_f64 v[38:39], v[62:63], v[38:39]
	v_add_f64 v[32:33], v[64:65], v[54:55]
	;; [unrolled: 1-line block ×4, first 2 shown]
	v_fma_f64 v[136:137], v[208:209], s[4:5], -v[126:127]
	v_fma_f64 v[126:127], v[208:209], s[4:5], v[126:127]
	s_waitcnt vmcnt(0)
	v_add_f64 v[0:1], v[66:67], v[0:1]
	s_clause 0x1
	buffer_load_dword v66, off, s[60:63], 0 offset:256
	buffer_load_dword v67, off, s[60:63], 0 offset:260
	v_add_f64 v[0:1], v[0:1], v[40:41]
	v_mul_f64 v[40:41], v[243:244], s[22:23]
	s_waitcnt vmcnt(0)
	v_add_f64 v[42:43], v[42:43], -v[66:67]
	v_fma_f64 v[66:67], v[18:19], s[40:41], v[60:61]
	v_fma_f64 v[18:19], v[18:19], s[36:37], v[60:61]
	s_clause 0x1
	buffer_load_dword v60, off, s[60:63], 0 offset:384
	buffer_load_dword v61, off, s[60:63], 0 offset:388
	v_add_f64 v[12:13], v[42:43], v[12:13]
	v_mul_f64 v[42:43], v[245:246], s[36:37]
	v_add_f64 v[18:19], v[18:19], v[28:29]
	v_mul_f64 v[28:29], v[6:7], s[24:25]
	v_add_f64 v[32:33], v[66:67], v[32:33]
	v_fma_f64 v[54:55], v[243:244], s[30:31], -v[42:43]
	v_fma_f64 v[42:43], v[243:244], s[30:31], v[42:43]
	v_add_f64 v[20:21], v[54:55], v[20:21]
	v_add_f64 v[42:43], v[42:43], v[52:53]
	s_waitcnt vmcnt(0)
	v_add_f64 v[44:45], v[60:61], v[44:45]
	s_clause 0x3
	buffer_load_dword v60, off, s[60:63], 0 offset:368
	buffer_load_dword v61, off, s[60:63], 0 offset:372
	;; [unrolled: 1-line block ×4, first 2 shown]
	v_add_f64 v[24:25], v[44:45], v[24:25]
	v_mul_f64 v[44:45], v[228:229], s[24:25]
	s_waitcnt vmcnt(2)
	v_add_f64 v[30:31], v[30:31], -v[60:61]
	v_mul_f64 v[60:61], v[10:11], s[28:29]
	v_mul_f64 v[10:11], v[10:11], s[22:23]
	v_add_f64 v[26:27], v[30:31], v[26:27]
	s_waitcnt vmcnt(0)
	v_add_f64 v[60:61], v[68:69], v[60:61]
	s_clause 0x1
	buffer_load_dword v68, off, s[60:63], 0 offset:336
	buffer_load_dword v69, off, s[60:63], 0 offset:340
	v_add_f64 v[34:35], v[60:61], v[34:35]
	s_waitcnt vmcnt(0)
	v_add_f64 v[36:37], v[36:37], -v[68:69]
	s_clause 0x1
	buffer_load_dword v68, off, s[60:63], 0 offset:304
	buffer_load_dword v69, off, s[60:63], 0 offset:308
	v_add_f64 v[36:37], v[36:37], v[38:39]
	v_mul_f64 v[38:39], v[239:240], s[20:21]
	v_fma_f64 v[54:55], v[228:229], s[16:17], v[38:39]
	v_fma_f64 v[38:39], v[228:229], s[16:17], -v[38:39]
	v_add_f64 v[54:55], v[54:55], v[132:133]
	v_add_f64 v[38:39], v[38:39], v[2:3]
	v_fma_f64 v[132:133], v[208:209], s[14:15], -v[128:129]
	v_fma_f64 v[128:129], v[208:209], s[14:15], v[128:129]
	s_waitcnt vmcnt(0)
	v_add_f64 v[10:11], v[68:69], v[10:11]
	s_clause 0x1
	buffer_load_dword v68, off, s[60:63], 0 offset:288
	buffer_load_dword v69, off, s[60:63], 0 offset:292
	v_add_f64 v[0:1], v[10:11], v[0:1]
	v_mul_f64 v[10:11], v[228:229], s[30:31]
	s_waitcnt vmcnt(0)
	v_add_f64 v[40:41], v[40:41], -v[68:69]
	s_clause 0x3
	buffer_load_dword v68, off, s[60:63], 0 offset:636
	buffer_load_dword v69, off, s[60:63], 0 offset:640
	;; [unrolled: 1-line block ×4, first 2 shown]
	v_add_f64 v[12:13], v[40:41], v[12:13]
	v_mul_f64 v[40:41], v[239:240], s[52:53]
	s_waitcnt vmcnt(2)
	v_add_f64 v[22:23], v[22:23], v[68:69]
	s_waitcnt vmcnt(0)
	v_add_f64 v[28:29], v[56:57], v[28:29]
	s_clause 0x7
	buffer_load_dword v56, off, s[60:63], 0 offset:620
	buffer_load_dword v57, off, s[60:63], 0 offset:624
	;; [unrolled: 1-line block ×8, first 2 shown]
	v_add_f64 v[24:25], v[28:29], v[24:25]
	v_mul_f64 v[28:29], v[249:250], s[16:17]
	s_waitcnt vmcnt(6)
	v_add_f64 v[44:45], v[44:45], -v[56:57]
	v_mul_f64 v[56:57], v[6:7], s[14:15]
	v_add_f64 v[44:45], v[44:45], v[26:27]
	s_waitcnt vmcnt(4)
	v_add_f64 v[56:57], v[58:59], v[56:57]
	v_mul_f64 v[58:59], v[228:229], s[14:15]
	v_add_f64 v[34:35], v[56:57], v[34:35]
	s_waitcnt vmcnt(2)
	v_add_f64 v[58:59], v[58:59], -v[60:61]
	v_mul_f64 v[60:61], v[6:7], s[30:31]
	v_mul_f64 v[6:7], v[6:7], s[22:23]
	;; [unrolled: 1-line block ×3, first 2 shown]
	v_add_f64 v[36:37], v[58:59], v[36:37]
	s_waitcnt vmcnt(0)
	v_add_f64 v[60:61], v[62:63], v[60:61]
	s_clause 0x1
	buffer_load_dword v62, off, s[60:63], 0 offset:296
	buffer_load_dword v63, off, s[60:63], 0 offset:300
	v_fma_f64 v[30:31], v[251:252], s[52:53], v[6:7]
	v_fma_f64 v[6:7], v[251:252], s[26:27], v[6:7]
	v_add_f64 v[0:1], v[60:61], v[0:1]
	v_add_f64 v[18:19], v[30:31], v[18:19]
	v_mul_f64 v[30:31], v[249:250], s[30:31]
	v_add_f64 v[138:139], v[6:7], v[32:33]
	s_waitcnt vmcnt(0)
	v_add_f64 v[10:11], v[10:11], -v[62:63]
	s_clause 0x1
	buffer_load_dword v62, off, s[60:63], 0 offset:612
	buffer_load_dword v63, off, s[60:63], 0 offset:616
	v_add_f64 v[12:13], v[10:11], v[12:13]
	s_waitcnt vmcnt(0)
	v_add_f64 v[22:23], v[22:23], v[62:63]
	s_clause 0xf
	buffer_load_dword v62, off, s[60:63], 0 offset:588
	buffer_load_dword v63, off, s[60:63], 0 offset:592
	;; [unrolled: 1-line block ×16, first 2 shown]
	s_waitcnt vmcnt(14)
	v_add_f64 v[16:17], v[16:17], v[62:63]
	s_waitcnt vmcnt(12)
	v_add_f64 v[30:31], v[52:53], v[30:31]
	v_mul_f64 v[52:53], v[208:209], s[30:31]
	s_waitcnt vmcnt(8)
	v_add_f64 v[28:29], v[66:67], v[28:29]
	v_mul_f64 v[66:67], v[249:250], s[34:35]
	v_fma_f64 v[62:63], v[228:229], s[22:23], -v[40:41]
	v_fma_f64 v[40:41], v[228:229], s[22:23], v[40:41]
	s_waitcnt vmcnt(0)
	v_add_f64 v[130:131], v[22:23], v[104:105]
	s_clause 0x3
	buffer_load_dword v22, off, s[60:63], 0 offset:564
	buffer_load_dword v23, off, s[60:63], 0 offset:568
	;; [unrolled: 1-line block ×4, first 2 shown]
	v_add_f64 v[56:57], v[56:57], -v[60:61]
	v_mul_f64 v[60:61], v[222:223], s[26:27]
	v_add_f64 v[52:53], v[52:53], -v[64:65]
	v_mul_f64 v[64:65], v[208:209], s[16:17]
	v_add_f64 v[66:67], v[70:71], v[66:67]
	v_add_f64 v[58:59], v[62:63], v[20:21]
	;; [unrolled: 1-line block ×6, first 2 shown]
	v_mul_f64 v[70:71], v[249:250], s[22:23]
	v_fma_f64 v[8:9], v[208:209], s[22:23], -v[60:61]
	v_add_f64 v[24:25], v[56:57], v[12:13]
	v_fma_f64 v[60:61], v[208:209], s[22:23], v[60:61]
	v_add_f64 v[64:65], v[64:65], -v[68:69]
	v_add_f64 v[26:27], v[66:67], v[0:1]
	s_clause 0x1
	buffer_load_dword v0, off, s[60:63], 0 offset:508
	buffer_load_dword v1, off, s[60:63], 0 offset:512
	v_mul_f64 v[68:69], v[249:250], s[14:15]
	v_add_f64 v[12:13], v[136:137], v[58:59]
	v_add_f64 v[8:9], v[8:9], v[38:39]
	;; [unrolled: 1-line block ×5, first 2 shown]
	v_mov_b32_e32 v36, 51
	v_fma_f64 v[10:11], v[210:211], s[18:19], v[68:69]
	s_waitcnt vmcnt(4)
	v_add_f64 v[16:17], v[16:17], v[22:23]
	v_fma_f64 v[22:23], v[210:211], s[38:39], v[68:69]
	v_fma_f64 v[68:69], v[210:211], s[26:27], v[70:71]
	s_waitcnt vmcnt(2)
	v_add_f64 v[2:3], v[10:11], v[2:3]
	v_fma_f64 v[70:71], v[210:211], s[52:53], v[70:71]
	v_add_f64 v[6:7], v[22:23], v[4:5]
	v_add_f64 v[22:23], v[28:29], v[34:35]
	v_add_f64 v[10:11], v[68:69], v[50:51]
	v_add_f64 v[4:5], v[132:133], v[48:49]
	v_add_f64 v[34:35], v[70:71], v[62:63]
	s_waitcnt vmcnt(0)
	v_add_f64 v[30:31], v[130:131], v[0:1]
	s_clause 0x2
	buffer_load_dword v0, off, s[60:63], 0 offset:516
	buffer_load_dword v1, off, s[60:63], 0 offset:520
	;; [unrolled: 1-line block ×3, first 2 shown]
	s_waitcnt vmcnt(1)
	v_add_f64 v[28:29], v[16:17], v[0:1]
	s_waitcnt vmcnt(0)
	v_mul_u32_u24_sdwa v42, v37, v36 dst_sel:DWORD dst_unused:UNUSED_PAD src0_sel:WORD_0 src1_sel:DWORD
	v_add_f64 v[36:37], v[126:127], v[40:41]
	buffer_load_dword v40, off, s[60:63], 0 offset:216 ; 4-byte Folded Reload
	v_add_f64 v[16:17], v[52:53], v[44:45]
	v_add_f64 v[0:1], v[128:129], v[140:141]
	s_waitcnt vmcnt(0)
	v_add_lshl_u32 v40, v42, v40, 4
	ds_write_b128 v40, v[28:31]
	ds_write_b128 v40, v[24:27] offset:48
	ds_write_b128 v40, v[20:23] offset:96
	ds_write_b128 v40, v[16:19] offset:144
	ds_write_b128 v40, v[12:15] offset:192
	ds_write_b128 v40, v[8:11] offset:240
	ds_write_b128 v40, v[4:7] offset:288
	s_clause 0x3
	buffer_load_dword v4, off, s[60:63], 0 offset:644
	buffer_load_dword v5, off, s[60:63], 0 offset:648
	buffer_load_dword v6, off, s[60:63], 0 offset:652
	buffer_load_dword v7, off, s[60:63], 0 offset:656
	s_waitcnt vmcnt(0)
	ds_write_b128 v40, v[4:7] offset:336
	s_clause 0x3
	buffer_load_dword v4, off, s[60:63], 0 offset:532
	buffer_load_dword v5, off, s[60:63], 0 offset:536
	buffer_load_dword v6, off, s[60:63], 0 offset:540
	buffer_load_dword v7, off, s[60:63], 0 offset:544
	s_waitcnt vmcnt(0)
	ds_write_b128 v40, v[4:7] offset:384
	;; [unrolled: 7-line block ×4, first 2 shown]
	ds_write_b128 v40, v[0:3] offset:528
	ds_write_b128 v40, v[32:35] offset:576
	;; [unrolled: 1-line block ×6, first 2 shown]
.LBB0_11:
	s_or_b32 exec_lo, exec_lo, s1
	v_mad_u64_u32 v[0:1], null, 0x60, v232, s[2:3]
	s_waitcnt lgkmcnt(0)
	s_waitcnt_vscnt null, 0x0
	s_barrier
	buffer_gl0_inv
	s_mov_b32 s2, 0x37e14327
	s_mov_b32 s12, 0x36b3c0b5
	;; [unrolled: 1-line block ×3, first 2 shown]
	s_clause 0x5
	global_load_dwordx4 v[60:63], v[0:1], off offset:768
	global_load_dwordx4 v[56:59], v[0:1], off offset:784
	;; [unrolled: 1-line block ×6, first 2 shown]
	ds_read_b128 v[128:131], v255
	ds_read_b128 v[124:127], v255 offset:816
	ds_read_b128 v[192:195], v255 offset:1632
	;; [unrolled: 1-line block ×13, first 2 shown]
	s_mov_b32 s3, 0x3fe948f6
	s_mov_b32 s13, 0x3fac98ee
	;; [unrolled: 1-line block ×17, first 2 shown]
	v_mul_hi_i32_i24_e32 v204, 0xffffffb0, v232
	s_waitcnt vmcnt(0) lgkmcnt(0)
	s_barrier
	buffer_gl0_inv
	v_mul_f64 v[2:3], v[194:195], v[62:63]
	v_mul_f64 v[4:5], v[192:193], v[62:63]
	;; [unrolled: 1-line block ×22, first 2 shown]
	v_fma_f64 v[2:3], v[192:193], v[60:61], -v[2:3]
	v_fma_f64 v[4:5], v[194:195], v[60:61], v[4:5]
	v_fma_f64 v[6:7], v[196:197], v[56:57], -v[6:7]
	v_fma_f64 v[8:9], v[198:199], v[56:57], v[8:9]
	;; [unrolled: 2-line block ×3, first 2 shown]
	v_mul_f64 v[188:189], v[138:139], v[50:51]
	v_mul_f64 v[190:191], v[136:137], v[50:51]
	v_fma_f64 v[18:19], v[200:201], v[64:65], -v[18:19]
	v_fma_f64 v[20:21], v[202:203], v[64:65], v[20:21]
	v_fma_f64 v[22:23], v[184:185], v[68:69], -v[22:23]
	v_fma_f64 v[24:25], v[186:187], v[68:69], v[24:25]
	;; [unrolled: 2-line block ×8, first 2 shown]
	v_mul_i32_i24_e32 v196, 0xffffffb0, v232
	v_fma_f64 v[132:133], v[136:137], v[48:49], -v[188:189]
	v_fma_f64 v[134:135], v[138:139], v[48:49], v[190:191]
	v_add_f64 v[136:137], v[2:3], v[18:19]
	v_add_f64 v[138:139], v[4:5], v[20:21]
	;; [unrolled: 1-line block ×6, first 2 shown]
	v_add_f64 v[6:7], v[6:7], -v[22:23]
	v_add_f64 v[8:9], v[8:9], -v[24:25]
	v_add_f64 v[22:23], v[26:27], v[34:35]
	v_add_f64 v[24:25], v[28:29], v[36:37]
	v_add_f64 v[10:11], v[14:15], -v[10:11]
	v_add_f64 v[12:13], v[16:17], -v[12:13]
	v_add_f64 v[152:153], v[30:31], v[38:39]
	v_add_f64 v[154:155], v[32:33], v[40:41]
	v_add_f64 v[14:15], v[26:27], -v[34:35]
	v_add_f64 v[16:17], v[28:29], -v[36:37]
	;; [unrolled: 1-line block ×6, first 2 shown]
	v_add_f64 v[26:27], v[42:43], v[132:133]
	v_add_f64 v[28:29], v[44:45], v[134:135]
	v_add_f64 v[30:31], v[132:133], -v[42:43]
	v_add_f64 v[32:33], v[134:135], -v[44:45]
	v_add_f64 v[34:35], v[140:141], v[136:137]
	v_add_f64 v[36:37], v[142:143], v[138:139]
	v_add_f64 v[38:39], v[140:141], -v[136:137]
	v_add_f64 v[40:41], v[142:143], -v[138:139]
	;; [unrolled: 1-line block ×6, first 2 shown]
	v_add_f64 v[140:141], v[10:11], v[6:7]
	v_add_f64 v[142:143], v[12:13], v[8:9]
	;; [unrolled: 1-line block ×4, first 2 shown]
	v_add_f64 v[176:177], v[10:11], -v[6:7]
	v_add_f64 v[178:179], v[12:13], -v[8:9]
	;; [unrolled: 1-line block ×10, first 2 shown]
	v_add_f64 v[34:35], v[148:149], v[34:35]
	v_add_f64 v[36:37], v[150:151], v[36:37]
	;; [unrolled: 1-line block ×4, first 2 shown]
	v_add_f64 v[188:189], v[30:31], -v[18:19]
	v_add_f64 v[190:191], v[32:33], -v[20:21]
	;; [unrolled: 1-line block ×6, first 2 shown]
	v_add_f64 v[26:27], v[26:27], v[136:137]
	v_add_f64 v[28:29], v[28:29], v[138:139]
	v_mul_f64 v[42:43], v[42:43], s[2:3]
	v_mul_f64 v[136:137], v[132:133], s[12:13]
	v_add_f64 v[138:139], v[140:141], v[2:3]
	v_add_f64 v[140:141], v[142:143], v[4:5]
	v_mul_f64 v[44:45], v[44:45], s[2:3]
	v_mul_f64 v[142:143], v[134:135], s[12:13]
	v_mul_f64 v[148:149], v[176:177], s[16:17]
	v_mul_f64 v[150:151], v[178:179], s[16:17]
	v_mul_f64 v[176:177], v[180:181], s[14:15]
	v_mul_f64 v[178:179], v[182:183], s[14:15]
	v_add_f64 v[2:3], v[128:129], v[34:35]
	v_add_f64 v[4:5], v[130:131], v[36:37]
	v_add_f64 v[30:31], v[14:15], -v[30:31]
	v_add_f64 v[32:33], v[16:17], -v[32:33]
	v_add_f64 v[14:15], v[152:153], v[14:15]
	v_add_f64 v[16:17], v[154:155], v[16:17]
	v_mul_f64 v[152:153], v[6:7], s[2:3]
	v_mul_f64 v[154:155], v[8:9], s[2:3]
	v_mul_f64 v[188:189], v[188:189], s[16:17]
	v_mul_f64 v[190:191], v[190:191], s[16:17]
	v_add_f64 v[6:7], v[124:125], v[26:27]
	v_add_f64 v[8:9], v[126:127], v[28:29]
	v_mul_f64 v[192:193], v[18:19], s[14:15]
	v_mul_f64 v[194:195], v[20:21], s[14:15]
	;; [unrolled: 1-line block ×4, first 2 shown]
	v_fma_f64 v[124:125], v[132:133], s[12:13], v[42:43]
	v_fma_f64 v[126:127], v[38:39], s[20:21], -v[136:137]
	v_fma_f64 v[38:39], v[38:39], s[18:19], -v[42:43]
	v_fma_f64 v[42:43], v[134:135], s[12:13], v[44:45]
	v_fma_f64 v[132:133], v[40:41], s[20:21], -v[142:143]
	v_fma_f64 v[40:41], v[40:41], s[18:19], -v[44:45]
	v_fma_f64 v[44:45], v[10:11], s[24:25], v[148:149]
	v_fma_f64 v[134:135], v[12:13], s[24:25], v[150:151]
	;; [unrolled: 1-line block ×4, first 2 shown]
	v_fma_f64 v[136:137], v[180:181], s[14:15], -v[148:149]
	v_fma_f64 v[142:143], v[182:183], s[14:15], -v[150:151]
	;; [unrolled: 1-line block ×4, first 2 shown]
	v_fma_f64 v[22:23], v[22:23], s[12:13], v[152:153]
	v_fma_f64 v[24:25], v[24:25], s[12:13], v[154:155]
	;; [unrolled: 1-line block ×6, first 2 shown]
	v_fma_f64 v[30:31], v[30:31], s[26:27], -v[192:193]
	v_fma_f64 v[32:33], v[32:33], s[26:27], -v[194:195]
	;; [unrolled: 1-line block ×8, first 2 shown]
	v_fma_f64 v[44:45], v[138:139], s[22:23], v[44:45]
	v_fma_f64 v[134:135], v[140:141], s[22:23], v[134:135]
	v_add_f64 v[124:125], v[124:125], v[34:35]
	v_add_f64 v[42:43], v[42:43], v[36:37]
	v_fma_f64 v[136:137], v[138:139], s[22:23], v[136:137]
	v_fma_f64 v[142:143], v[140:141], s[22:23], v[142:143]
	;; [unrolled: 1-line block ×4, first 2 shown]
	v_add_f64 v[38:39], v[38:39], v[34:35]
	v_add_f64 v[40:41], v[40:41], v[36:37]
	;; [unrolled: 1-line block ×4, first 2 shown]
	v_fma_f64 v[148:149], v[14:15], s[22:23], v[148:149]
	v_fma_f64 v[132:133], v[16:17], s[22:23], v[150:151]
	v_add_f64 v[180:181], v[22:23], v[26:27]
	v_add_f64 v[182:183], v[24:25], v[28:29]
	v_fma_f64 v[176:177], v[14:15], s[22:23], v[30:31]
	v_fma_f64 v[178:179], v[16:17], s[22:23], v[32:33]
	v_add_f64 v[152:153], v[152:153], v[26:27]
	v_add_f64 v[154:155], v[154:155], v[28:29]
	;; [unrolled: 4-line block ×3, first 2 shown]
	v_add_f64 v[10:11], v[134:135], v[124:125]
	v_add_f64 v[12:13], v[42:43], -v[44:45]
	v_add_f64 v[30:31], v[124:125], -v[134:135]
	v_add_f64 v[32:33], v[44:45], v[42:43]
	v_add_co_u32 v184, s1, v0, v196
	v_add_f64 v[14:15], v[140:141], v[38:39]
	v_add_f64 v[16:17], v[40:41], -v[138:139]
	v_add_f64 v[18:19], v[34:35], -v[142:143]
	v_add_f64 v[20:21], v[136:137], v[36:37]
	v_add_f64 v[22:23], v[142:143], v[34:35]
	v_add_f64 v[24:25], v[36:37], -v[136:137]
	v_add_f64 v[26:27], v[38:39], -v[140:141]
	v_add_f64 v[28:29], v[138:139], v[40:41]
	v_add_f64 v[34:35], v[132:133], v[180:181]
	v_add_f64 v[36:37], v[182:183], -v[148:149]
	v_add_f64 v[38:39], v[178:179], v[152:153]
	v_add_f64 v[40:41], v[154:155], -v[176:177]
	v_add_co_ci_u32_e64 v185, s1, v1, v204, s1
	v_add_f64 v[42:43], v[128:129], -v[150:151]
	v_add_f64 v[44:45], v[126:127], v[130:131]
	v_add_f64 v[124:125], v[150:151], v[128:129]
	v_add_f64 v[126:127], v[130:131], -v[126:127]
	v_add_f64 v[128:129], v[152:153], -v[178:179]
	v_add_f64 v[130:131], v[176:177], v[154:155]
	v_add_f64 v[132:133], v[180:181], -v[132:133]
	v_add_f64 v[134:135], v[148:149], v[182:183]
	v_add_co_u32 v0, s1, 0x1000, v184
	v_add_co_ci_u32_e64 v1, s1, 0, v185, s1
	v_add_co_u32 v136, s1, 0x1800, v184
	v_add_co_ci_u32_e64 v137, s1, 0, v185, s1
	ds_write_b128 v255, v[2:5]
	ds_write_b128 v255, v[6:9] offset:5712
	ds_write_b128 v255, v[10:13] offset:816
	;; [unrolled: 1-line block ×13, first 2 shown]
	s_waitcnt lgkmcnt(0)
	s_barrier
	buffer_gl0_inv
	s_clause 0x1
	global_load_dwordx4 v[124:127], v[0:1], off offset:1568
	global_load_dwordx4 v[128:131], v[136:137], off offset:336
	v_add_co_u32 v0, s1, 0x2000, v184
	v_add_co_ci_u32_e64 v1, s1, 0, v185, s1
	v_add_co_u32 v2, s1, 0x2800, v184
	s_clause 0x1
	global_load_dwordx4 v[132:135], v[136:137], off offset:1152
	global_load_dwordx4 v[136:139], v[136:137], off offset:1968
	v_add_co_ci_u32_e64 v3, s1, 0, v185, s1
	s_clause 0x2
	global_load_dwordx4 v[148:151], v[0:1], off offset:736
	global_load_dwordx4 v[140:143], v[0:1], off offset:1552
	;; [unrolled: 1-line block ×3, first 2 shown]
	ds_read_b128 v[0:3], v255 offset:5712
	ds_read_b128 v[4:7], v255 offset:6528
	;; [unrolled: 1-line block ×8, first 2 shown]
	ds_read_b128 v[32:35], v255
	ds_read_b128 v[36:39], v255 offset:816
	v_add_co_u32 v245, s1, 0x2800, v238
	v_add_co_ci_u32_e64 v246, s1, 0, v46, s1
	s_waitcnt vmcnt(6) lgkmcnt(9)
	v_mul_f64 v[40:41], v[2:3], v[126:127]
	v_mul_f64 v[42:43], v[0:1], v[126:127]
	s_waitcnt vmcnt(5) lgkmcnt(8)
	v_mul_f64 v[44:45], v[6:7], v[130:131]
	v_mul_f64 v[176:177], v[4:5], v[130:131]
	;; [unrolled: 3-line block ×7, first 2 shown]
	v_fma_f64 v[40:41], v[0:1], v[124:125], -v[40:41]
	v_fma_f64 v[42:43], v[2:3], v[124:125], v[42:43]
	v_fma_f64 v[44:45], v[4:5], v[128:129], -v[44:45]
	v_fma_f64 v[176:177], v[6:7], v[128:129], v[176:177]
	ds_read_b128 v[0:3], v255 offset:1632
	ds_read_b128 v[4:7], v255 offset:2448
	v_fma_f64 v[178:179], v[8:9], v[132:133], -v[178:179]
	v_fma_f64 v[180:181], v[10:11], v[132:133], v[180:181]
	v_fma_f64 v[182:183], v[12:13], v[136:137], -v[182:183]
	v_fma_f64 v[184:185], v[14:15], v[136:137], v[184:185]
	;; [unrolled: 2-line block ×5, first 2 shown]
	ds_read_b128 v[8:11], v255 offset:3264
	ds_read_b128 v[12:15], v255 offset:4080
	s_waitcnt lgkmcnt(5)
	v_add_f64 v[16:17], v[32:33], -v[40:41]
	v_add_f64 v[18:19], v[34:35], -v[42:43]
	s_waitcnt lgkmcnt(4)
	v_add_f64 v[20:21], v[36:37], -v[44:45]
	v_add_f64 v[22:23], v[38:39], -v[176:177]
	;; [unrolled: 3-line block ×6, first 2 shown]
	v_add_f64 v[180:181], v[28:29], -v[194:195]
	v_add_f64 v[182:183], v[30:31], -v[196:197]
	v_fma_f64 v[32:33], v[32:33], 2.0, -v[16:17]
	v_fma_f64 v[34:35], v[34:35], 2.0, -v[18:19]
	;; [unrolled: 1-line block ×14, first 2 shown]
	ds_write_b128 v255, v[16:19] offset:5712
	ds_write_b128 v255, v[20:23] offset:6528
	ds_write_b128 v255, v[24:27] offset:7344
	ds_write_b128 v255, v[40:43] offset:8160
	ds_write_b128 v255, v[176:179] offset:8976
	ds_write_b128 v255, v[188:191] offset:9792
	ds_write_b128 v255, v[180:183] offset:10608
	ds_write_b128 v255, v[32:35]
	ds_write_b128 v255, v[36:39] offset:816
	ds_write_b128 v255, v[0:3] offset:1632
	;; [unrolled: 1-line block ×6, first 2 shown]
	s_waitcnt lgkmcnt(0)
	s_barrier
	buffer_gl0_inv
	global_load_dwordx4 v[2:5], v[245:246], off offset:1184
	v_add_co_u32 v22, s1, 0x3800, v238
	v_add_co_ci_u32_e64 v23, s1, 0, v46, s1
	v_add_co_u32 v38, s1, 0x4800, v238
	v_add_co_ci_u32_e64 v39, s1, 0, v46, s1
	global_load_dwordx4 v[6:9], v[22:23], off offset:896
	v_add_co_u32 v0, s1, 0x2ca0, v238
	global_load_dwordx4 v[10:13], v[38:39], off offset:608
	v_add_co_ci_u32_e64 v1, s1, 0, v46, s1
	ds_read_b128 v[18:21], v255
	v_add_co_u32 v34, s1, 0x3000, v238
	s_clause 0x1
	global_load_dwordx4 v[14:17], v[0:1], off offset:816
	global_load_dwordx4 v[22:25], v[22:23], off offset:1712
	ds_read_b128 v[26:29], v255 offset:3808
	ds_read_b128 v[30:33], v255 offset:816
	global_load_dwordx4 v[38:41], v[38:39], off offset:1424
	ds_read_b128 v[42:45], v255 offset:4624
	v_add_co_ci_u32_e64 v35, s1, 0, v46, s1
	v_add_co_u32 v192, s1, 0x4000, v238
	v_add_co_ci_u32_e64 v193, s1, 0, v46, s1
	global_load_dwordx4 v[34:37], v[34:35], off offset:1584
	s_waitcnt vmcnt(6) lgkmcnt(3)
	v_mul_f64 v[176:177], v[20:21], v[4:5]
	v_mul_f64 v[4:5], v[18:19], v[4:5]
	s_waitcnt vmcnt(5) lgkmcnt(2)
	v_mul_f64 v[188:189], v[28:29], v[8:9]
	v_mul_f64 v[8:9], v[26:27], v[8:9]
	v_fma_f64 v[18:19], v[18:19], v[2:3], -v[176:177]
	global_load_dwordx4 v[176:179], v[0:1], off offset:1632
	v_fma_f64 v[20:21], v[20:21], v[2:3], v[4:5]
	ds_read_b128 v[2:5], v255 offset:7616
	v_fma_f64 v[26:27], v[26:27], v[6:7], -v[188:189]
	v_fma_f64 v[28:29], v[28:29], v[6:7], v[8:9]
	ds_read_b128 v[6:9], v255 offset:8432
	s_waitcnt vmcnt(5) lgkmcnt(1)
	v_mul_f64 v[188:189], v[4:5], v[12:13]
	v_mul_f64 v[12:13], v[2:3], v[12:13]
	v_fma_f64 v[2:3], v[2:3], v[10:11], -v[188:189]
	v_fma_f64 v[4:5], v[4:5], v[10:11], v[12:13]
	global_load_dwordx4 v[10:13], v[192:193], off offset:480
	s_waitcnt vmcnt(5)
	v_mul_f64 v[188:189], v[32:33], v[16:17]
	v_mul_f64 v[16:17], v[30:31], v[16:17]
	s_waitcnt vmcnt(3) lgkmcnt(0)
	v_mul_f64 v[190:191], v[6:7], v[40:41]
	v_fma_f64 v[30:31], v[30:31], v[14:15], -v[188:189]
	v_fma_f64 v[32:33], v[32:33], v[14:15], v[16:17]
	v_mul_f64 v[14:15], v[44:45], v[24:25]
	v_mul_f64 v[16:17], v[42:43], v[24:25]
	;; [unrolled: 1-line block ×3, first 2 shown]
	v_fma_f64 v[8:9], v[8:9], v[38:39], v[190:191]
	v_fma_f64 v[14:15], v[42:43], v[22:23], -v[14:15]
	v_fma_f64 v[16:17], v[44:45], v[22:23], v[16:17]
	ds_read_b128 v[22:25], v255 offset:1632
	ds_read_b128 v[40:43], v255 offset:2448
	v_fma_f64 v[6:7], v[6:7], v[38:39], -v[188:189]
	ds_read_b128 v[188:191], v255 offset:5440
	s_waitcnt vmcnt(1) lgkmcnt(2)
	v_mul_f64 v[38:39], v[24:25], v[178:179]
	v_mul_f64 v[44:45], v[22:23], v[178:179]
	v_fma_f64 v[22:23], v[22:23], v[176:177], -v[38:39]
	v_fma_f64 v[24:25], v[24:25], v[176:177], v[44:45]
	global_load_dwordx4 v[176:179], v[192:193], off offset:1296
	ds_read_b128 v[192:195], v255 offset:6256
	s_waitcnt vmcnt(1) lgkmcnt(1)
	v_mul_f64 v[38:39], v[190:191], v[12:13]
	v_mul_f64 v[12:13], v[188:189], v[12:13]
	v_fma_f64 v[188:189], v[188:189], v[10:11], -v[38:39]
	v_add_co_u32 v38, s1, 0x5000, v238
	v_add_co_ci_u32_e64 v39, s1, 0, v46, s1
	v_fma_f64 v[190:191], v[190:191], v[10:11], v[12:13]
	s_clause 0x1
	global_load_dwordx4 v[10:13], v[38:39], off offset:192
	global_load_dwordx4 v[196:199], v[38:39], off offset:1008
	ds_read_b128 v[200:203], v255 offset:9248
	ds_read_b128 v[204:207], v255 offset:10064
	s_waitcnt vmcnt(1) lgkmcnt(1)
	v_mul_f64 v[38:39], v[202:203], v[12:13]
	v_mul_f64 v[12:13], v[200:201], v[12:13]
	v_fma_f64 v[200:201], v[200:201], v[10:11], -v[38:39]
	v_fma_f64 v[202:203], v[202:203], v[10:11], v[12:13]
	v_mul_f64 v[10:11], v[42:43], v[36:37]
	v_mul_f64 v[12:13], v[40:41], v[36:37]
	;; [unrolled: 1-line block ×3, first 2 shown]
	s_waitcnt vmcnt(0) lgkmcnt(0)
	v_mul_f64 v[38:39], v[206:207], v[198:199]
	v_fma_f64 v[10:11], v[40:41], v[34:35], -v[10:11]
	v_fma_f64 v[12:13], v[42:43], v[34:35], v[12:13]
	v_mul_f64 v[34:35], v[194:195], v[178:179]
	v_mul_f64 v[40:41], v[204:205], v[198:199]
	v_fma_f64 v[36:37], v[194:195], v[176:177], v[36:37]
	v_fma_f64 v[38:39], v[204:205], v[196:197], -v[38:39]
	v_fma_f64 v[34:35], v[192:193], v[176:177], -v[34:35]
	v_fma_f64 v[40:41], v[206:207], v[196:197], v[40:41]
	ds_write_b128 v255, v[18:21]
	ds_write_b128 v255, v[26:29] offset:3808
	ds_write_b128 v255, v[2:5] offset:7616
	;; [unrolled: 1-line block ×11, first 2 shown]
	s_and_saveexec_b32 s2, vcc_lo
	s_cbranch_execz .LBB0_13
; %bb.12:
	v_add_co_u32 v2, s1, 0x800, v0
	v_add_co_ci_u32_e64 v3, s1, 0, v1, s1
	v_add_co_u32 v4, s1, 0x1800, v0
	v_add_co_ci_u32_e64 v5, s1, 0, v1, s1
	;; [unrolled: 2-line block ×3, first 2 shown]
	s_clause 0x2
	global_load_dwordx4 v[0:3], v[2:3], off offset:1216
	global_load_dwordx4 v[4:7], v[4:5], off offset:928
	;; [unrolled: 1-line block ×3, first 2 shown]
	ds_read_b128 v[12:15], v255 offset:3264
	ds_read_b128 v[16:19], v255 offset:7072
	;; [unrolled: 1-line block ×3, first 2 shown]
	s_waitcnt vmcnt(2) lgkmcnt(2)
	v_mul_f64 v[24:25], v[14:15], v[2:3]
	v_mul_f64 v[2:3], v[12:13], v[2:3]
	s_waitcnt vmcnt(1) lgkmcnt(1)
	v_mul_f64 v[26:27], v[18:19], v[6:7]
	v_mul_f64 v[6:7], v[16:17], v[6:7]
	;; [unrolled: 3-line block ×3, first 2 shown]
	v_fma_f64 v[10:11], v[12:13], v[0:1], -v[24:25]
	v_fma_f64 v[12:13], v[14:15], v[0:1], v[2:3]
	v_fma_f64 v[0:1], v[16:17], v[4:5], -v[26:27]
	v_fma_f64 v[2:3], v[18:19], v[4:5], v[6:7]
	;; [unrolled: 2-line block ×3, first 2 shown]
	ds_write_b128 v255, v[10:13] offset:3264
	ds_write_b128 v255, v[0:3] offset:7072
	;; [unrolled: 1-line block ×3, first 2 shown]
.LBB0_13:
	s_or_b32 exec_lo, exec_lo, s2
	s_waitcnt lgkmcnt(0)
	s_barrier
	buffer_gl0_inv
	ds_read_b128 v[220:223], v255
	ds_read_b128 v[200:203], v255 offset:816
	ds_read_b128 v[228:231], v255 offset:3808
	;; [unrolled: 1-line block ×11, first 2 shown]
	s_and_saveexec_b32 s1, vcc_lo
	s_cbranch_execz .LBB0_15
; %bb.14:
	ds_read_b128 v[184:187], v255 offset:3264
	ds_read_b128 v[180:183], v255 offset:7072
	;; [unrolled: 1-line block ×3, first 2 shown]
.LBB0_15:
	s_or_b32 exec_lo, exec_lo, s1
	s_waitcnt lgkmcnt(7)
	v_add_f64 v[0:1], v[228:229], v[176:177]
	v_add_f64 v[2:3], v[230:231], v[178:179]
	v_add_f64 v[4:5], v[220:221], v[228:229]
	v_add_f64 v[6:7], v[230:231], -v[178:179]
	s_waitcnt lgkmcnt(6)
	v_add_f64 v[8:9], v[224:225], v[188:189]
	v_add_f64 v[10:11], v[222:223], v[230:231]
	v_add_f64 v[12:13], v[228:229], -v[176:177]
	v_add_f64 v[14:15], v[226:227], v[190:191]
	v_add_f64 v[16:17], v[200:201], v[224:225]
	s_waitcnt lgkmcnt(1)
	v_add_f64 v[20:21], v[216:217], v[204:205]
	v_add_f64 v[26:27], v[218:219], v[206:207]
	s_waitcnt lgkmcnt(0)
	v_add_f64 v[28:29], v[212:213], v[196:197]
	v_add_f64 v[30:31], v[214:215], v[198:199]
	v_add_f64 v[38:39], v[180:181], v[172:173]
	v_add_f64 v[44:45], v[182:183], v[174:175]
	s_mov_b32 s2, 0xe8584caa
	s_mov_b32 s3, 0xbfebb67a
	;; [unrolled: 1-line block ×4, first 2 shown]
	v_add_f64 v[18:19], v[226:227], -v[190:191]
	v_add_f64 v[22:23], v[202:203], v[226:227]
	v_add_f64 v[24:25], v[224:225], -v[188:189]
	v_fma_f64 v[0:1], v[0:1], -0.5, v[220:221]
	v_fma_f64 v[2:3], v[2:3], -0.5, v[222:223]
	v_add_f64 v[32:33], v[192:193], v[216:217]
	v_add_f64 v[34:35], v[218:219], -v[206:207]
	v_add_f64 v[36:37], v[194:195], v[218:219]
	v_add_f64 v[40:41], v[216:217], -v[204:205]
	;; [unrolled: 2-line block ×3, first 2 shown]
	v_fma_f64 v[8:9], v[8:9], -0.5, v[200:201]
	v_add_f64 v[218:219], v[210:211], v[214:215]
	v_add_f64 v[228:229], v[212:213], -v[196:197]
	v_fma_f64 v[14:15], v[14:15], -0.5, v[202:203]
	v_add_f64 v[176:177], v[4:5], v[176:177]
	v_fma_f64 v[4:5], v[20:21], -0.5, v[192:193]
	v_add_f64 v[178:179], v[10:11], v[178:179]
	v_add_f64 v[212:213], v[16:17], v[188:189]
	v_fma_f64 v[10:11], v[26:27], -0.5, v[194:195]
	v_fma_f64 v[16:17], v[28:29], -0.5, v[208:209]
	;; [unrolled: 1-line block ×4, first 2 shown]
	v_add_f64 v[28:29], v[180:181], -v[172:173]
	v_add_f64 v[214:215], v[22:23], v[190:191]
	v_fma_f64 v[224:225], v[6:7], s[2:3], v[0:1]
	v_fma_f64 v[220:221], v[6:7], s[4:5], v[0:1]
	;; [unrolled: 1-line block ×4, first 2 shown]
	v_add_f64 v[0:1], v[184:185], v[180:181]
	v_fma_f64 v[2:3], v[38:39], -0.5, v[184:185]
	v_add_f64 v[6:7], v[182:183], -v[174:175]
	v_add_f64 v[12:13], v[186:187], v[182:183]
	v_fma_f64 v[200:201], v[18:19], s[2:3], v[8:9]
	v_fma_f64 v[192:193], v[18:19], s[4:5], v[8:9]
	v_add_f64 v[188:189], v[32:33], v[204:205]
	v_fma_f64 v[202:203], v[24:25], s[4:5], v[14:15]
	v_fma_f64 v[194:195], v[24:25], s[2:3], v[14:15]
	;; [unrolled: 1-line block ×4, first 2 shown]
	v_add_f64 v[190:191], v[36:37], v[206:207]
	v_fma_f64 v[186:187], v[40:41], s[4:5], v[10:11]
	v_fma_f64 v[210:211], v[40:41], s[2:3], v[10:11]
	v_add_f64 v[204:205], v[42:43], v[196:197]
	v_fma_f64 v[180:181], v[216:217], s[2:3], v[16:17]
	v_fma_f64 v[196:197], v[216:217], s[4:5], v[16:17]
	;; [unrolled: 3-line block ×3, first 2 shown]
	v_fma_f64 v[218:219], v[28:29], s[4:5], v[26:27]
	v_fma_f64 v[230:231], v[28:29], s[2:3], v[26:27]
	v_add_f64 v[172:173], v[0:1], v[172:173]
	v_fma_f64 v[216:217], v[6:7], s[2:3], v[2:3]
	v_fma_f64 v[228:229], v[6:7], s[4:5], v[2:3]
	v_add_f64 v[174:175], v[12:13], v[174:175]
	s_barrier
	buffer_gl0_inv
	ds_write_b128 v233, v[176:179]
	ds_write_b128 v233, v[224:227] offset:16
	ds_write_b128 v233, v[220:223] offset:32
	ds_write_b128 v242, v[212:215]
	ds_write_b128 v242, v[200:203] offset:16
	ds_write_b128 v242, v[192:195] offset:32
	;; [unrolled: 3-line block ×4, first 2 shown]
	s_and_saveexec_b32 s1, vcc_lo
	s_cbranch_execz .LBB0_17
; %bb.16:
	v_lshlrev_b32_e32 v0, 4, v247
	ds_write_b128 v0, v[172:175]
	ds_write_b128 v0, v[216:219] offset:16
	ds_write_b128 v0, v[228:231] offset:32
.LBB0_17:
	s_or_b32 exec_lo, exec_lo, s1
	s_waitcnt lgkmcnt(0)
	s_barrier
	buffer_gl0_inv
	s_and_saveexec_b32 s1, s0
	s_cbranch_execz .LBB0_19
; %bb.18:
	ds_read_b128 v[176:179], v255
	ds_read_b128 v[224:227], v255 offset:672
	ds_read_b128 v[220:223], v255 offset:1344
	;; [unrolled: 1-line block ×16, first 2 shown]
.LBB0_19:
	s_or_b32 exec_lo, exec_lo, s1
	s_waitcnt lgkmcnt(0)
	s_barrier
	buffer_gl0_inv
	s_and_saveexec_b32 s33, s0
	s_cbranch_execz .LBB0_21
; %bb.20:
	s_clause 0x3
	buffer_load_dword v22, off, s[60:63], 0 offset:224
	buffer_load_dword v23, off, s[60:63], 0 offset:228
	;; [unrolled: 1-line block ×4, first 2 shown]
	v_mul_f64 v[0:1], v[90:91], v[226:227]
	v_mul_f64 v[2:3], v[114:115], v[212:213]
	;; [unrolled: 1-line block ×4, first 2 shown]
	v_mov_b32_e32 v238, v232
	s_mov_b32 s0, 0xacd6c6b4
	s_mov_b32 s1, 0xbfc7851a
	v_mul_f64 v[12:13], v[98:99], v[206:207]
	v_mul_f64 v[16:17], v[82:83], v[190:191]
	s_mov_b32 s12, 0x5d8e7cdc
	s_mov_b32 s2, 0x7faef3
	;; [unrolled: 1-line block ×13, first 2 shown]
	v_fma_f64 v[42:43], v[88:89], v[224:225], v[0:1]
	v_mul_f64 v[0:1], v[90:91], v[224:225]
	s_mov_b32 s19, 0x3fe7a5f6
	s_mov_b32 s24, 0x6c9a05f6
	;; [unrolled: 1-line block ×21, first 2 shown]
	v_fma_f64 v[226:227], v[88:89], v[226:227], -v[0:1]
	v_mul_f64 v[0:1], v[146:147], v[166:167]
	s_mov_b32 s43, 0xbfd71e95
	s_mov_b32 s42, s12
	;; [unrolled: 1-line block ×10, first 2 shown]
	v_add_f64 v[40:41], v[178:179], v[226:227]
	v_fma_f64 v[18:19], v[144:145], v[164:165], v[0:1]
	v_mul_f64 v[0:1], v[146:147], v[164:165]
	buffer_store_dword v18, off, s[60:63], 0 offset:256 ; 4-byte Folded Spill
	buffer_store_dword v19, off, s[60:63], 0 offset:260 ; 4-byte Folded Spill
	v_fma_f64 v[224:225], v[144:145], v[166:167], -v[0:1]
	v_mul_f64 v[0:1], v[118:119], v[222:223]
	v_add_f64 v[232:233], v[226:227], -v[224:225]
	v_fma_f64 v[146:147], v[116:117], v[220:221], v[0:1]
	v_mul_f64 v[0:1], v[118:119], v[220:221]
	v_add_f64 v[236:237], v[226:227], v[224:225]
	v_fma_f64 v[164:165], v[116:117], v[222:223], -v[0:1]
	v_mul_f64 v[0:1], v[158:159], v[170:171]
	v_fma_f64 v[116:117], v[160:161], v[228:229], v[4:5]
	v_mul_f64 v[4:5], v[122:123], v[216:217]
	v_add_f64 v[40:41], v[40:41], v[164:165]
	v_fma_f64 v[144:145], v[156:157], v[168:169], v[0:1]
	v_mul_f64 v[0:1], v[158:159], v[168:169]
	v_fma_f64 v[168:169], v[100:101], v[202:203], -v[6:7]
	v_mul_f64 v[6:7], v[86:87], v[194:195]
	v_fma_f64 v[20:21], v[156:157], v[170:171], -v[0:1]
	;; [unrolled: 2-line block ×3, first 2 shown]
	v_mul_f64 v[2:3], v[102:103], v[202:203]
	v_fma_f64 v[114:115], v[112:113], v[212:213], v[0:1]
	v_mul_f64 v[0:1], v[162:163], v[228:229]
	v_fma_f64 v[162:163], v[100:101], v[200:201], v[2:3]
	v_mul_f64 v[2:3], v[98:99], v[204:205]
	v_fma_f64 v[112:113], v[120:121], v[218:219], -v[4:5]
	v_fma_f64 v[200:201], v[84:85], v[192:193], v[6:7]
	v_mul_f64 v[6:7], v[94:95], v[198:199]
	v_fma_f64 v[212:213], v[80:81], v[188:189], v[16:17]
	v_add_f64 v[40:41], v[40:41], v[156:157]
	v_fma_f64 v[118:119], v[160:161], v[230:231], -v[0:1]
	v_mul_f64 v[0:1], v[122:123], v[218:219]
	v_fma_f64 v[158:159], v[96:97], v[206:207], -v[2:3]
	v_add_f64 v[122:123], v[146:147], -v[144:145]
	v_add_f64 v[206:207], v[168:169], -v[112:113]
	v_fma_f64 v[160:161], v[92:93], v[196:197], v[6:7]
	v_mul_f64 v[6:7], v[74:75], v[180:181]
	v_add_f64 v[40:41], v[40:41], v[168:169]
	v_add_f64 v[170:171], v[156:157], -v[118:119]
	v_fma_f64 v[102:103], v[120:121], v[216:217], v[0:1]
	v_mul_f64 v[0:1], v[86:87], v[192:193]
	v_fma_f64 v[120:121], v[96:97], v[204:205], v[12:13]
	v_mul_f64 v[12:13], v[78:79], v[186:187]
	v_add_f64 v[192:193], v[156:157], v[118:119]
	v_add_f64 v[218:219], v[212:213], -v[160:161]
	v_add_f64 v[202:203], v[212:213], v[160:161]
	v_mul_f64 v[44:45], v[122:123], s[52:53]
	v_add_f64 v[204:205], v[162:163], v[102:103]
	v_fma_f64 v[194:195], v[84:85], v[194:195], -v[0:1]
	v_mul_f64 v[0:1], v[78:79], v[184:185]
	v_fma_f64 v[216:217], v[76:77], v[184:185], v[12:13]
	v_add_f64 v[184:185], v[114:115], v[116:117]
	v_mul_f64 v[12:13], v[170:171], s[16:17]
	v_add_f64 v[40:41], v[40:41], v[194:195]
	v_fma_f64 v[222:223], v[76:77], v[186:187], -v[0:1]
	s_waitcnt vmcnt(0)
	v_mul_f64 v[8:9], v[24:25], v[210:211]
	v_mul_f64 v[10:11], v[24:25], v[208:209]
	s_clause 0x3
	buffer_load_dword v24, off, s[60:63], 0 offset:240
	buffer_load_dword v25, off, s[60:63], 0 offset:244
	;; [unrolled: 1-line block ×4, first 2 shown]
	buffer_store_dword v20, off, s[60:63], 0 offset:264 ; 4-byte Folded Spill
	buffer_store_dword v21, off, s[60:63], 0 offset:268 ; 4-byte Folded Spill
	v_fma_f64 v[106:107], v[22:23], v[208:209], v[8:9]
	v_fma_f64 v[104:105], v[22:23], v[210:211], -v[10:11]
	v_mul_f64 v[8:9], v[82:83], v[188:189]
	v_mul_f64 v[10:11], v[232:233], s[0:1]
	v_add_f64 v[188:189], v[146:147], v[144:145]
	v_add_f64 v[251:252], v[106:107], -v[120:121]
	v_add_f64 v[253:254], v[104:105], -v[158:159]
	v_fma_f64 v[220:221], v[80:81], v[190:191], -v[8:9]
	v_add_f64 v[228:229], v[106:107], v[120:121]
	v_add_f64 v[234:235], v[42:43], -v[18:19]
	v_add_f64 v[239:240], v[42:43], v[18:19]
	v_mul_f64 v[18:19], v[94:95], v[196:197]
	v_add_f64 v[42:43], v[176:177], v[42:43]
	v_mul_f64 v[2:3], v[234:235], s[0:1]
	v_fma_f64 v[16:17], v[239:240], s[2:3], -v[10:11]
	v_fma_f64 v[166:167], v[92:93], v[198:199], -v[18:19]
	v_add_f64 v[42:43], v[42:43], v[146:147]
	v_mul_f64 v[146:147], v[170:171], s[46:47]
	v_fma_f64 v[8:9], v[236:237], s[2:3], v[2:3]
	v_add_f64 v[16:17], v[176:177], v[16:17]
	v_fma_f64 v[2:3], v[236:237], s[2:3], -v[2:3]
	v_add_f64 v[196:197], v[220:221], v[166:167]
	v_add_f64 v[243:244], v[220:221], -v[166:167]
	v_add_f64 v[42:43], v[42:43], v[114:115]
	v_add_f64 v[8:9], v[178:179], v[8:9]
	;; [unrolled: 1-line block ×5, first 2 shown]
	v_add_f64 v[110:111], v[164:165], -v[20:21]
	s_waitcnt vmcnt(0)
	v_mul_f64 v[4:5], v[26:27], v[174:175]
	v_mul_f64 v[14:15], v[26:27], v[172:173]
	v_add_f64 v[190:191], v[164:165], v[20:21]
	v_mul_f64 v[20:21], v[74:75], v[182:183]
	v_fma_f64 v[164:165], v[184:185], s[30:31], -v[146:147]
	v_fma_f64 v[100:101], v[24:25], v[172:173], v[4:5]
	v_fma_f64 v[108:109], v[24:25], v[174:175], -v[14:15]
	v_add_f64 v[172:173], v[114:115], -v[116:117]
	v_mul_f64 v[4:5], v[122:123], s[12:13]
	v_mul_f64 v[14:15], v[110:111], s[12:13]
	v_add_f64 v[174:175], v[162:163], -v[102:103]
	v_fma_f64 v[230:231], v[72:73], v[180:181], v[20:21]
	v_fma_f64 v[72:73], v[72:73], v[182:183], -v[6:7]
	v_add_f64 v[182:183], v[168:169], v[112:113]
	v_add_f64 v[180:181], v[104:105], v[158:159]
	v_fma_f64 v[46:47], v[190:191], s[14:15], v[44:45]
	v_fma_f64 v[44:45], v[190:191], s[14:15], -v[44:45]
	v_add_f64 v[214:215], v[200:201], -v[100:101]
	v_add_f64 v[210:211], v[194:195], v[108:109]
	v_mul_f64 v[0:1], v[172:173], s[16:17]
	v_fma_f64 v[18:19], v[190:191], s[4:5], v[4:5]
	v_fma_f64 v[22:23], v[188:189], s[4:5], -v[14:15]
	v_mul_f64 v[6:7], v[174:175], s[20:21]
	v_add_f64 v[247:248], v[194:195], -v[108:109]
	v_add_f64 v[241:242], v[200:201], v[100:101]
	v_fma_f64 v[4:5], v[190:191], s[4:5], -v[4:5]
	v_add_f64 v[208:209], v[216:217], -v[230:231]
	v_add_f64 v[186:187], v[222:223], v[72:73]
	v_add_f64 v[249:250], v[222:223], -v[72:73]
	v_add_f64 v[198:199], v[216:217], v[230:231]
	v_fma_f64 v[20:21], v[192:193], s[14:15], v[0:1]
	v_add_f64 v[8:9], v[18:19], v[8:9]
	v_fma_f64 v[18:19], v[184:185], s[14:15], -v[12:13]
	v_add_f64 v[16:17], v[22:23], v[16:17]
	v_fma_f64 v[0:1], v[192:193], s[14:15], -v[0:1]
	v_add_f64 v[2:3], v[4:5], v[2:3]
	v_fma_f64 v[4:5], v[239:240], s[2:3], v[10:11]
	v_fma_f64 v[10:11], v[188:189], s[4:5], v[14:15]
	v_add_f64 v[8:9], v[20:21], v[8:9]
	v_fma_f64 v[20:21], v[182:183], s[18:19], v[6:7]
	v_add_f64 v[16:17], v[18:19], v[16:17]
	v_mul_f64 v[18:19], v[206:207], s[20:21]
	v_add_f64 v[0:1], v[0:1], v[2:3]
	v_add_f64 v[4:5], v[176:177], v[4:5]
	v_fma_f64 v[2:3], v[184:185], s[14:15], v[12:13]
	v_add_f64 v[8:9], v[20:21], v[8:9]
	v_fma_f64 v[20:21], v[204:205], s[18:19], -v[18:19]
	v_add_f64 v[4:5], v[10:11], v[4:5]
	v_mul_f64 v[10:11], v[110:111], s[28:29]
	v_add_f64 v[16:17], v[20:21], v[16:17]
	v_mul_f64 v[20:21], v[214:215], s[24:25]
	v_add_f64 v[2:3], v[2:3], v[4:5]
	v_fma_f64 v[4:5], v[182:183], s[18:19], -v[6:7]
	v_fma_f64 v[12:13], v[188:189], s[26:27], -v[10:11]
	v_fma_f64 v[22:23], v[210:211], s[22:23], v[20:21]
	v_add_f64 v[0:1], v[4:5], v[0:1]
	v_fma_f64 v[4:5], v[204:205], s[18:19], v[18:19]
	v_add_f64 v[8:9], v[22:23], v[8:9]
	v_mul_f64 v[22:23], v[247:248], s[24:25]
	v_add_f64 v[2:3], v[4:5], v[2:3]
	v_fma_f64 v[4:5], v[210:211], s[22:23], -v[20:21]
	v_fma_f64 v[24:25], v[241:242], s[22:23], -v[22:23]
	v_add_f64 v[0:1], v[4:5], v[0:1]
	v_fma_f64 v[4:5], v[241:242], s[22:23], v[22:23]
	v_add_f64 v[16:17], v[24:25], v[16:17]
	v_mul_f64 v[24:25], v[218:219], s[28:29]
	v_add_f64 v[2:3], v[4:5], v[2:3]
	v_fma_f64 v[26:27], v[196:197], s[26:27], v[24:25]
	v_fma_f64 v[4:5], v[196:197], s[26:27], -v[24:25]
	v_add_f64 v[8:9], v[26:27], v[8:9]
	v_mul_f64 v[26:27], v[243:244], s[28:29]
	v_add_f64 v[0:1], v[4:5], v[0:1]
	v_fma_f64 v[28:29], v[202:203], s[26:27], -v[26:27]
	v_fma_f64 v[4:5], v[202:203], s[26:27], v[26:27]
	v_add_f64 v[16:17], v[28:29], v[16:17]
	v_mul_f64 v[28:29], v[208:209], s[36:37]
	v_add_f64 v[2:3], v[4:5], v[2:3]
	v_fma_f64 v[30:31], v[186:187], s[30:31], v[28:29]
	v_fma_f64 v[4:5], v[186:187], s[30:31], -v[28:29]
	v_add_f64 v[8:9], v[30:31], v[8:9]
	v_mul_f64 v[30:31], v[249:250], s[36:37]
	v_add_f64 v[0:1], v[4:5], v[0:1]
	v_fma_f64 v[32:33], v[198:199], s[30:31], -v[30:31]
	v_fma_f64 v[4:5], v[198:199], s[30:31], v[30:31]
	v_add_f64 v[16:17], v[32:33], v[16:17]
	v_mul_f64 v[32:33], v[251:252], s[40:41]
	v_add_f64 v[2:3], v[4:5], v[2:3]
	v_fma_f64 v[34:35], v[180:181], s[34:35], v[32:33]
	v_fma_f64 v[4:5], v[180:181], s[34:35], -v[32:33]
	v_add_f64 v[98:99], v[34:35], v[8:9]
	v_mul_f64 v[8:9], v[253:254], s[40:41]
	v_add_f64 v[78:79], v[4:5], v[0:1]
	v_mul_f64 v[0:1], v[234:235], s[16:17]
	v_mul_f64 v[4:5], v[122:123], s[28:29]
	v_fma_f64 v[6:7], v[228:229], s[34:35], v[8:9]
	v_fma_f64 v[34:35], v[228:229], s[34:35], -v[8:9]
	v_add_f64 v[76:77], v[6:7], v[2:3]
	v_fma_f64 v[2:3], v[236:237], s[14:15], v[0:1]
	v_fma_f64 v[6:7], v[190:191], s[26:27], v[4:5]
	v_add_f64 v[96:97], v[34:35], v[16:17]
	v_fma_f64 v[0:1], v[236:237], s[14:15], -v[0:1]
	v_fma_f64 v[4:5], v[190:191], s[26:27], -v[4:5]
	v_add_f64 v[2:3], v[178:179], v[2:3]
	v_add_f64 v[0:1], v[178:179], v[0:1]
	;; [unrolled: 1-line block ×3, first 2 shown]
	v_mul_f64 v[6:7], v[232:233], s[16:17]
	v_add_f64 v[0:1], v[4:5], v[0:1]
	v_fma_f64 v[8:9], v[239:240], s[14:15], -v[6:7]
	v_add_f64 v[8:9], v[176:177], v[8:9]
	v_add_f64 v[8:9], v[12:13], v[8:9]
	v_mul_f64 v[12:13], v[172:173], s[38:39]
	v_fma_f64 v[14:15], v[192:193], s[34:35], v[12:13]
	v_fma_f64 v[4:5], v[192:193], s[34:35], -v[12:13]
	v_add_f64 v[2:3], v[14:15], v[2:3]
	v_mul_f64 v[14:15], v[170:171], s[38:39]
	v_add_f64 v[0:1], v[4:5], v[0:1]
	v_fma_f64 v[16:17], v[184:185], s[34:35], -v[14:15]
	v_add_f64 v[8:9], v[16:17], v[8:9]
	v_mul_f64 v[16:17], v[174:175], s[44:45]
	v_fma_f64 v[18:19], v[182:183], s[22:23], v[16:17]
	v_fma_f64 v[4:5], v[182:183], s[22:23], -v[16:17]
	v_add_f64 v[2:3], v[18:19], v[2:3]
	v_mul_f64 v[18:19], v[206:207], s[44:45]
	v_add_f64 v[0:1], v[4:5], v[0:1]
	v_fma_f64 v[4:5], v[239:240], s[14:15], v[6:7]
	v_fma_f64 v[6:7], v[188:189], s[26:27], v[10:11]
	v_mul_f64 v[10:11], v[110:111], s[46:47]
	v_fma_f64 v[20:21], v[204:205], s[22:23], -v[18:19]
	v_add_f64 v[4:5], v[176:177], v[4:5]
	v_fma_f64 v[12:13], v[188:189], s[30:31], -v[10:11]
	v_add_f64 v[8:9], v[20:21], v[8:9]
	v_mul_f64 v[20:21], v[214:215], s[42:43]
	v_add_f64 v[4:5], v[6:7], v[4:5]
	v_fma_f64 v[22:23], v[210:211], s[4:5], v[20:21]
	v_fma_f64 v[6:7], v[210:211], s[4:5], -v[20:21]
	v_add_f64 v[2:3], v[22:23], v[2:3]
	v_mul_f64 v[22:23], v[247:248], s[42:43]
	v_add_f64 v[0:1], v[6:7], v[0:1]
	v_fma_f64 v[6:7], v[184:185], s[34:35], v[14:15]
	v_fma_f64 v[24:25], v[241:242], s[4:5], -v[22:23]
	v_add_f64 v[4:5], v[6:7], v[4:5]
	v_add_f64 v[8:9], v[24:25], v[8:9]
	v_mul_f64 v[24:25], v[218:219], s[0:1]
	v_fma_f64 v[26:27], v[196:197], s[2:3], v[24:25]
	v_fma_f64 v[6:7], v[196:197], s[2:3], -v[24:25]
	v_add_f64 v[2:3], v[26:27], v[2:3]
	v_mul_f64 v[26:27], v[243:244], s[0:1]
	v_add_f64 v[0:1], v[6:7], v[0:1]
	v_fma_f64 v[6:7], v[204:205], s[22:23], v[18:19]
	v_fma_f64 v[28:29], v[202:203], s[2:3], -v[26:27]
	v_add_f64 v[4:5], v[6:7], v[4:5]
	v_add_f64 v[8:9], v[28:29], v[8:9]
	v_mul_f64 v[28:29], v[208:209], s[20:21]
	v_fma_f64 v[30:31], v[186:187], s[18:19], v[28:29]
	v_fma_f64 v[6:7], v[186:187], s[18:19], -v[28:29]
	v_add_f64 v[2:3], v[30:31], v[2:3]
	v_mul_f64 v[30:31], v[249:250], s[20:21]
	v_add_f64 v[0:1], v[6:7], v[0:1]
	v_fma_f64 v[6:7], v[241:242], s[4:5], v[22:23]
	v_fma_f64 v[32:33], v[198:199], s[18:19], -v[30:31]
	v_add_f64 v[4:5], v[6:7], v[4:5]
	v_fma_f64 v[6:7], v[202:203], s[2:3], v[26:27]
	v_add_f64 v[8:9], v[32:33], v[8:9]
	v_mul_f64 v[32:33], v[251:252], s[36:37]
	v_add_f64 v[4:5], v[6:7], v[4:5]
	v_fma_f64 v[6:7], v[198:199], s[18:19], v[30:31]
	v_fma_f64 v[34:35], v[180:181], s[30:31], v[32:33]
	v_add_f64 v[4:5], v[6:7], v[4:5]
	v_fma_f64 v[6:7], v[180:181], s[30:31], -v[32:33]
	v_add_f64 v[82:83], v[34:35], v[2:3]
	v_mul_f64 v[2:3], v[253:254], s[36:37]
	v_add_f64 v[86:87], v[6:7], v[0:1]
	v_mul_f64 v[0:1], v[234:235], s[24:25]
	v_fma_f64 v[34:35], v[228:229], s[30:31], -v[2:3]
	v_fma_f64 v[2:3], v[228:229], s[30:31], v[2:3]
	v_add_f64 v[80:81], v[34:35], v[8:9]
	v_add_f64 v[84:85], v[2:3], v[4:5]
	v_fma_f64 v[2:3], v[236:237], s[22:23], v[0:1]
	v_mul_f64 v[4:5], v[122:123], s[46:47]
	v_fma_f64 v[0:1], v[236:237], s[22:23], -v[0:1]
	v_add_f64 v[2:3], v[178:179], v[2:3]
	v_fma_f64 v[6:7], v[190:191], s[30:31], v[4:5]
	v_fma_f64 v[4:5], v[190:191], s[30:31], -v[4:5]
	v_add_f64 v[0:1], v[178:179], v[0:1]
	v_add_f64 v[2:3], v[6:7], v[2:3]
	v_mul_f64 v[6:7], v[232:233], s[24:25]
	v_add_f64 v[0:1], v[4:5], v[0:1]
	v_fma_f64 v[8:9], v[239:240], s[22:23], -v[6:7]
	v_fma_f64 v[4:5], v[239:240], s[22:23], v[6:7]
	v_fma_f64 v[6:7], v[188:189], s[30:31], v[10:11]
	v_add_f64 v[8:9], v[176:177], v[8:9]
	v_add_f64 v[4:5], v[176:177], v[4:5]
	;; [unrolled: 1-line block ×3, first 2 shown]
	v_mul_f64 v[12:13], v[172:173], s[42:43]
	v_add_f64 v[4:5], v[6:7], v[4:5]
	v_fma_f64 v[14:15], v[192:193], s[4:5], v[12:13]
	v_fma_f64 v[6:7], v[192:193], s[4:5], -v[12:13]
	v_add_f64 v[2:3], v[14:15], v[2:3]
	v_mul_f64 v[14:15], v[170:171], s[42:43]
	v_add_f64 v[0:1], v[6:7], v[0:1]
	v_fma_f64 v[16:17], v[184:185], s[4:5], -v[14:15]
	v_fma_f64 v[6:7], v[184:185], s[4:5], v[14:15]
	v_add_f64 v[8:9], v[16:17], v[8:9]
	v_mul_f64 v[16:17], v[174:175], s[16:17]
	v_add_f64 v[4:5], v[6:7], v[4:5]
	v_fma_f64 v[18:19], v[182:183], s[14:15], v[16:17]
	v_fma_f64 v[6:7], v[182:183], s[14:15], -v[16:17]
	v_add_f64 v[2:3], v[18:19], v[2:3]
	v_mul_f64 v[18:19], v[206:207], s[16:17]
	v_add_f64 v[0:1], v[6:7], v[0:1]
	v_fma_f64 v[20:21], v[204:205], s[14:15], -v[18:19]
	v_fma_f64 v[6:7], v[204:205], s[14:15], v[18:19]
	v_add_f64 v[8:9], v[20:21], v[8:9]
	v_mul_f64 v[20:21], v[214:215], s[40:41]
	v_add_f64 v[4:5], v[6:7], v[4:5]
	v_fma_f64 v[22:23], v[210:211], s[34:35], v[20:21]
	v_fma_f64 v[6:7], v[210:211], s[34:35], -v[20:21]
	v_mul_f64 v[20:21], v[232:233], s[36:37]
	v_add_f64 v[2:3], v[22:23], v[2:3]
	v_mul_f64 v[22:23], v[247:248], s[40:41]
	v_add_f64 v[0:1], v[6:7], v[0:1]
	v_fma_f64 v[24:25], v[241:242], s[34:35], -v[22:23]
	v_fma_f64 v[6:7], v[241:242], s[34:35], v[22:23]
	v_mul_f64 v[22:23], v[232:233], s[38:39]
	v_add_f64 v[8:9], v[24:25], v[8:9]
	v_mul_f64 v[24:25], v[218:219], s[48:49]
	v_add_f64 v[4:5], v[6:7], v[4:5]
	v_fma_f64 v[26:27], v[196:197], s[18:19], v[24:25]
	v_fma_f64 v[6:7], v[196:197], s[18:19], -v[24:25]
	v_mul_f64 v[24:25], v[232:233], s[50:51]
	v_add_f64 v[2:3], v[26:27], v[2:3]
	v_mul_f64 v[26:27], v[243:244], s[48:49]
	v_add_f64 v[0:1], v[6:7], v[0:1]
	v_fma_f64 v[28:29], v[202:203], s[18:19], -v[26:27]
	v_fma_f64 v[6:7], v[202:203], s[18:19], v[26:27]
	v_mul_f64 v[26:27], v[232:233], s[48:49]
	v_add_f64 v[8:9], v[28:29], v[8:9]
	v_mul_f64 v[28:29], v[208:209], s[0:1]
	v_add_f64 v[4:5], v[6:7], v[4:5]
	v_fma_f64 v[36:37], v[239:240], s[18:19], v[26:27]
	v_fma_f64 v[26:27], v[239:240], s[18:19], -v[26:27]
	v_fma_f64 v[30:31], v[186:187], s[2:3], v[28:29]
	v_fma_f64 v[6:7], v[186:187], s[2:3], -v[28:29]
	v_mul_f64 v[28:29], v[232:233], s[42:43]
	v_add_f64 v[36:37], v[176:177], v[36:37]
	v_add_f64 v[26:27], v[176:177], v[26:27]
	;; [unrolled: 1-line block ×3, first 2 shown]
	v_mul_f64 v[30:31], v[249:250], s[0:1]
	v_add_f64 v[0:1], v[6:7], v[0:1]
	v_fma_f64 v[38:39], v[239:240], s[4:5], v[28:29]
	v_fma_f64 v[28:29], v[239:240], s[4:5], -v[28:29]
	v_fma_f64 v[32:33], v[198:199], s[2:3], -v[30:31]
	v_fma_f64 v[6:7], v[198:199], s[2:3], v[30:31]
	v_fma_f64 v[30:31], v[239:240], s[30:31], -v[20:21]
	v_fma_f64 v[20:21], v[239:240], s[30:31], v[20:21]
	v_add_f64 v[38:39], v[176:177], v[38:39]
	v_add_f64 v[28:29], v[176:177], v[28:29]
	;; [unrolled: 1-line block ×3, first 2 shown]
	v_mul_f64 v[32:33], v[251:252], s[28:29]
	v_add_f64 v[4:5], v[6:7], v[4:5]
	v_add_f64 v[30:31], v[176:177], v[30:31]
	;; [unrolled: 1-line block ×3, first 2 shown]
	v_fma_f64 v[6:7], v[180:181], s[26:27], -v[32:33]
	v_fma_f64 v[34:35], v[180:181], s[26:27], v[32:33]
	v_fma_f64 v[32:33], v[239:240], s[34:35], -v[22:23]
	v_fma_f64 v[22:23], v[239:240], s[34:35], v[22:23]
	v_add_f64 v[94:95], v[6:7], v[0:1]
	v_mul_f64 v[0:1], v[234:235], s[36:37]
	v_add_f64 v[90:91], v[34:35], v[2:3]
	v_mul_f64 v[2:3], v[253:254], s[28:29]
	v_add_f64 v[32:33], v[176:177], v[32:33]
	v_add_f64 v[22:23], v[176:177], v[22:23]
	v_mul_f64 v[6:7], v[234:235], s[48:49]
	v_fma_f64 v[10:11], v[236:237], s[30:31], v[0:1]
	v_fma_f64 v[0:1], v[236:237], s[30:31], -v[0:1]
	v_fma_f64 v[34:35], v[228:229], s[26:27], -v[2:3]
	v_fma_f64 v[2:3], v[228:229], s[26:27], v[2:3]
	v_fma_f64 v[16:17], v[236:237], s[18:19], -v[6:7]
	v_fma_f64 v[6:7], v[236:237], s[18:19], v[6:7]
	v_add_f64 v[10:11], v[178:179], v[10:11]
	v_add_f64 v[0:1], v[178:179], v[0:1]
	;; [unrolled: 1-line block ×3, first 2 shown]
	v_fma_f64 v[34:35], v[239:240], s[26:27], -v[24:25]
	v_fma_f64 v[24:25], v[239:240], s[26:27], v[24:25]
	v_add_f64 v[92:93], v[2:3], v[4:5]
	v_mul_f64 v[2:3], v[234:235], s[38:39]
	v_mul_f64 v[4:5], v[234:235], s[50:51]
	;; [unrolled: 1-line block ×3, first 2 shown]
	v_add_f64 v[16:17], v[178:179], v[16:17]
	v_add_f64 v[6:7], v[178:179], v[6:7]
	;; [unrolled: 1-line block ×4, first 2 shown]
	v_mul_f64 v[44:45], v[172:173], s[20:21]
	v_add_f64 v[34:35], v[176:177], v[34:35]
	v_add_f64 v[24:25], v[176:177], v[24:25]
	v_fma_f64 v[12:13], v[236:237], s[34:35], v[2:3]
	v_fma_f64 v[2:3], v[236:237], s[34:35], -v[2:3]
	v_fma_f64 v[14:15], v[236:237], s[26:27], v[4:5]
	v_fma_f64 v[4:5], v[236:237], s[26:27], -v[4:5]
	v_fma_f64 v[18:19], v[236:237], s[4:5], -v[8:9]
	v_fma_f64 v[8:9], v[236:237], s[4:5], v[8:9]
	v_fma_f64 v[46:47], v[192:193], s[18:19], v[44:45]
	v_fma_f64 v[44:45], v[192:193], s[18:19], -v[44:45]
	v_add_f64 v[12:13], v[178:179], v[12:13]
	v_add_f64 v[2:3], v[178:179], v[2:3]
	;; [unrolled: 1-line block ×7, first 2 shown]
	v_mul_f64 v[46:47], v[110:111], s[52:53]
	v_add_f64 v[0:1], v[44:45], v[0:1]
	v_mul_f64 v[44:45], v[174:175], s[50:51]
	v_fma_f64 v[74:75], v[188:189], s[14:15], -v[46:47]
	v_add_f64 v[30:31], v[74:75], v[30:31]
	v_fma_f64 v[74:75], v[182:183], s[26:27], v[44:45]
	v_fma_f64 v[44:45], v[182:183], s[26:27], -v[44:45]
	v_add_f64 v[10:11], v[74:75], v[10:11]
	v_mul_f64 v[74:75], v[170:171], s[20:21]
	v_add_f64 v[0:1], v[44:45], v[0:1]
	v_mul_f64 v[44:45], v[214:215], s[0:1]
	v_fma_f64 v[176:177], v[184:185], s[18:19], -v[74:75]
	v_add_f64 v[30:31], v[176:177], v[30:31]
	v_fma_f64 v[176:177], v[210:211], s[2:3], v[44:45]
	v_fma_f64 v[44:45], v[210:211], s[2:3], -v[44:45]
	v_add_f64 v[10:11], v[176:177], v[10:11]
	v_mul_f64 v[176:177], v[206:207], s[50:51]
	v_add_f64 v[0:1], v[44:45], v[0:1]
	v_mul_f64 v[44:45], v[218:219], s[40:41]
	v_fma_f64 v[178:179], v[204:205], s[26:27], -v[176:177]
	v_fma_f64 v[176:177], v[204:205], s[26:27], v[176:177]
	v_add_f64 v[30:31], v[178:179], v[30:31]
	v_fma_f64 v[178:179], v[196:197], s[34:35], v[44:45]
	v_fma_f64 v[44:45], v[196:197], s[34:35], -v[44:45]
	v_add_f64 v[10:11], v[178:179], v[10:11]
	v_add_f64 v[0:1], v[44:45], v[0:1]
	v_fma_f64 v[44:45], v[188:189], s[14:15], v[46:47]
	v_mul_f64 v[178:179], v[247:248], s[0:1]
	v_add_f64 v[20:21], v[44:45], v[20:21]
	v_mul_f64 v[44:45], v[208:209], s[42:43]
	v_fma_f64 v[226:227], v[241:242], s[2:3], -v[178:179]
	v_fma_f64 v[46:47], v[186:187], s[4:5], v[44:45]
	v_fma_f64 v[44:45], v[186:187], s[4:5], -v[44:45]
	v_add_f64 v[30:31], v[226:227], v[30:31]
	v_add_f64 v[10:11], v[46:47], v[10:11]
	;; [unrolled: 1-line block ×3, first 2 shown]
	v_fma_f64 v[44:45], v[184:185], s[18:19], v[74:75]
	v_mul_f64 v[46:47], v[243:244], s[40:41]
	s_mov_b32 s41, 0x3fc7851a
	s_mov_b32 s40, s0
	v_add_f64 v[20:21], v[44:45], v[20:21]
	v_mul_f64 v[44:45], v[122:123], s[0:1]
	v_fma_f64 v[226:227], v[202:203], s[34:35], -v[46:47]
	v_fma_f64 v[46:47], v[202:203], s[34:35], v[46:47]
	v_add_f64 v[20:21], v[176:177], v[20:21]
	v_fma_f64 v[74:75], v[190:191], s[2:3], v[44:45]
	v_add_f64 v[30:31], v[226:227], v[30:31]
	v_fma_f64 v[44:45], v[190:191], s[2:3], -v[44:45]
	v_add_f64 v[12:13], v[74:75], v[12:13]
	v_mul_f64 v[74:75], v[249:250], s[42:43]
	v_add_f64 v[2:3], v[44:45], v[2:3]
	v_mul_f64 v[44:45], v[172:173], s[46:47]
	v_fma_f64 v[226:227], v[198:199], s[4:5], -v[74:75]
	v_fma_f64 v[176:177], v[192:193], s[30:31], v[44:45]
	v_fma_f64 v[44:45], v[192:193], s[30:31], -v[44:45]
	v_add_f64 v[30:31], v[226:227], v[30:31]
	v_mul_f64 v[226:227], v[110:111], s[0:1]
	v_add_f64 v[12:13], v[176:177], v[12:13]
	v_add_f64 v[2:3], v[44:45], v[2:3]
	v_mul_f64 v[44:45], v[174:175], s[12:13]
	v_fma_f64 v[114:115], v[188:189], s[2:3], v[226:227]
	v_fma_f64 v[232:233], v[188:189], s[2:3], -v[226:227]
	v_add_f64 v[22:23], v[114:115], v[22:23]
	v_mul_f64 v[114:115], v[122:123], s[24:25]
	v_add_f64 v[32:33], v[232:233], v[32:33]
	v_mov_b32_e32 v232, v238
	v_fma_f64 v[156:157], v[190:191], s[22:23], v[114:115]
	v_fma_f64 v[114:115], v[190:191], s[22:23], -v[114:115]
	v_add_f64 v[32:33], v[164:165], v[32:33]
	v_fma_f64 v[164:165], v[241:242], s[2:3], v[178:179]
	v_add_f64 v[14:15], v[156:157], v[14:15]
	v_add_f64 v[4:5], v[114:115], v[4:5]
	v_fma_f64 v[114:115], v[184:185], s[30:31], v[146:147]
	v_add_f64 v[20:21], v[164:165], v[20:21]
	v_fma_f64 v[164:165], v[182:183], s[4:5], v[44:45]
	v_mul_f64 v[156:157], v[206:207], s[12:13]
	v_fma_f64 v[44:45], v[182:183], s[4:5], -v[44:45]
	v_add_f64 v[22:23], v[114:115], v[22:23]
	v_mul_f64 v[114:115], v[172:173], s[40:41]
	v_add_f64 v[12:13], v[164:165], v[12:13]
	v_fma_f64 v[164:165], v[204:205], s[4:5], -v[156:157]
	v_add_f64 v[20:21], v[46:47], v[20:21]
	v_mul_f64 v[46:47], v[110:111], s[24:25]
	v_add_f64 v[2:3], v[44:45], v[2:3]
	v_mul_f64 v[44:45], v[214:215], s[50:51]
	v_fma_f64 v[146:147], v[192:193], s[2:3], v[114:115]
	v_fma_f64 v[114:115], v[192:193], s[2:3], -v[114:115]
	v_add_f64 v[32:33], v[164:165], v[32:33]
	v_fma_f64 v[164:165], v[188:189], s[22:23], -v[46:47]
	v_fma_f64 v[46:47], v[188:189], s[22:23], v[46:47]
	v_add_f64 v[14:15], v[146:147], v[14:15]
	v_mul_f64 v[146:147], v[247:248], s[50:51]
	v_add_f64 v[4:5], v[114:115], v[4:5]
	v_fma_f64 v[114:115], v[204:205], s[4:5], v[156:157]
	v_add_f64 v[34:35], v[164:165], v[34:35]
	v_fma_f64 v[164:165], v[210:211], s[26:27], v[44:45]
	v_fma_f64 v[44:45], v[210:211], s[26:27], -v[44:45]
	v_add_f64 v[24:25], v[46:47], v[24:25]
	v_mul_f64 v[46:47], v[206:207], s[46:47]
	v_fma_f64 v[162:163], v[241:242], s[26:27], -v[146:147]
	v_add_f64 v[22:23], v[114:115], v[22:23]
	v_mul_f64 v[114:115], v[174:175], s[46:47]
	v_add_f64 v[12:13], v[164:165], v[12:13]
	v_add_f64 v[2:3], v[44:45], v[2:3]
	v_mul_f64 v[44:45], v[218:219], s[16:17]
	v_add_f64 v[32:33], v[162:163], v[32:33]
	v_mul_f64 v[162:163], v[170:171], s[40:41]
	v_fma_f64 v[156:157], v[182:183], s[30:31], v[114:115]
	v_fma_f64 v[164:165], v[184:185], s[2:3], -v[162:163]
	v_add_f64 v[14:15], v[156:157], v[14:15]
	v_mul_f64 v[156:157], v[243:244], s[16:17]
	v_add_f64 v[34:35], v[164:165], v[34:35]
	v_fma_f64 v[164:165], v[196:197], s[14:15], v[44:45]
	v_fma_f64 v[44:45], v[196:197], s[14:15], -v[44:45]
	v_add_f64 v[12:13], v[164:165], v[12:13]
	v_add_f64 v[2:3], v[44:45], v[2:3]
	v_fma_f64 v[44:45], v[198:199], s[4:5], v[74:75]
	v_fma_f64 v[164:165], v[202:203], s[14:15], -v[156:157]
	v_add_f64 v[44:45], v[44:45], v[20:21]
	v_mul_f64 v[20:21], v[208:209], s[44:45]
	v_add_f64 v[32:33], v[164:165], v[32:33]
	v_fma_f64 v[164:165], v[204:205], s[30:31], -v[46:47]
	v_fma_f64 v[74:75], v[186:187], s[22:23], v[20:21]
	v_fma_f64 v[20:21], v[186:187], s[22:23], -v[20:21]
	v_add_f64 v[34:35], v[164:165], v[34:35]
	v_add_f64 v[74:75], v[74:75], v[12:13]
	;; [unrolled: 1-line block ×4, first 2 shown]
	v_fma_f64 v[42:43], v[182:183], s[30:31], -v[114:115]
	v_add_f64 v[20:21], v[20:21], v[2:3]
	v_add_f64 v[2:3], v[12:13], v[222:223]
	v_add_f64 v[12:13], v[40:41], v[216:217]
	v_add_f64 v[4:5], v[42:43], v[4:5]
	v_fma_f64 v[42:43], v[241:242], s[26:27], v[146:147]
	v_add_f64 v[2:3], v[2:3], v[104:105]
	v_add_f64 v[12:13], v[12:13], v[106:107]
	v_mul_f64 v[106:107], v[110:111], s[38:39]
	v_add_f64 v[22:23], v[42:43], v[22:23]
	v_mul_f64 v[42:43], v[214:215], s[20:21]
	v_mul_f64 v[110:111], v[110:111], s[48:49]
	v_add_f64 v[2:3], v[2:3], v[158:159]
	v_add_f64 v[12:13], v[12:13], v[120:121]
	v_fma_f64 v[120:121], v[188:189], s[34:35], v[106:107]
	v_fma_f64 v[106:107], v[188:189], s[34:35], -v[106:107]
	v_fma_f64 v[114:115], v[210:211], s[18:19], v[42:43]
	v_fma_f64 v[40:41], v[210:211], s[18:19], -v[42:43]
	v_mul_f64 v[158:159], v[253:254], s[0:1]
	v_add_f64 v[2:3], v[2:3], v[72:73]
	v_add_f64 v[12:13], v[12:13], v[230:231]
	v_add_f64 v[36:37], v[120:121], v[36:37]
	v_add_f64 v[26:27], v[106:107], v[26:27]
	v_add_f64 v[14:15], v[114:115], v[14:15]
	v_mul_f64 v[114:115], v[249:250], s[44:45]
	v_add_f64 v[4:5], v[40:41], v[4:5]
	v_fma_f64 v[40:41], v[202:203], s[14:15], v[156:157]
	v_mul_f64 v[106:107], v[170:171], s[50:51]
	v_mul_f64 v[156:157], v[251:252], s[0:1]
	v_add_f64 v[2:3], v[2:3], v[166:167]
	v_add_f64 v[12:13], v[12:13], v[160:161]
	v_mul_f64 v[160:161], v[253:254], s[12:13]
	v_fma_f64 v[146:147], v[198:199], s[22:23], -v[114:115]
	v_add_f64 v[22:23], v[40:41], v[22:23]
	v_mul_f64 v[40:41], v[218:219], s[42:43]
	v_add_f64 v[2:3], v[2:3], v[108:109]
	v_add_f64 v[12:13], v[12:13], v[100:101]
	;; [unrolled: 1-line block ×3, first 2 shown]
	v_fma_f64 v[146:147], v[184:185], s[2:3], v[162:163]
	v_fma_f64 v[42:43], v[196:197], s[4:5], v[40:41]
	v_fma_f64 v[40:41], v[196:197], s[4:5], -v[40:41]
	v_add_f64 v[2:3], v[2:3], v[112:113]
	v_add_f64 v[12:13], v[12:13], v[102:103]
	;; [unrolled: 1-line block ×3, first 2 shown]
	v_mul_f64 v[146:147], v[247:248], s[20:21]
	v_add_f64 v[14:15], v[42:43], v[14:15]
	v_fma_f64 v[42:43], v[204:205], s[30:31], v[46:47]
	v_add_f64 v[4:5], v[40:41], v[4:5]
	v_add_f64 v[2:3], v[2:3], v[118:119]
	v_mul_f64 v[118:119], v[249:250], s[28:29]
	v_add_f64 v[12:13], v[12:13], v[116:117]
	v_fma_f64 v[162:163], v[241:242], s[18:19], -v[146:147]
	v_fma_f64 v[40:41], v[241:242], s[18:19], v[146:147]
	v_add_f64 v[24:25], v[42:43], v[24:25]
	v_mul_f64 v[42:43], v[243:244], s[42:43]
	v_mul_f64 v[146:147], v[249:250], s[38:39]
	v_add_f64 v[12:13], v[12:13], v[144:145]
	v_add_f64 v[34:35], v[162:163], v[34:35]
	v_mul_f64 v[162:163], v[253:254], s[16:17]
	v_add_f64 v[24:25], v[40:41], v[24:25]
	v_fma_f64 v[46:47], v[202:203], s[4:5], -v[42:43]
	v_mul_f64 v[40:41], v[122:123], s[38:39]
	v_fma_f64 v[42:43], v[202:203], s[4:5], v[42:43]
	v_fma_f64 v[116:117], v[198:199], s[34:35], v[146:147]
	v_fma_f64 v[144:145], v[228:229], s[14:15], v[162:163]
	v_fma_f64 v[162:163], v[228:229], s[14:15], -v[162:163]
	v_add_f64 v[34:35], v[46:47], v[34:35]
	v_fma_f64 v[46:47], v[190:191], s[34:35], -v[40:41]
	v_fma_f64 v[40:41], v[190:191], s[34:35], v[40:41]
	v_add_f64 v[24:25], v[42:43], v[24:25]
	v_add_f64 v[16:17], v[46:47], v[16:17]
	v_mul_f64 v[46:47], v[122:123], s[48:49]
	v_add_f64 v[6:7], v[40:41], v[6:7]
	v_mul_f64 v[40:41], v[172:173], s[24:25]
	v_fma_f64 v[122:123], v[188:189], s[18:19], v[110:111]
	v_fma_f64 v[110:111], v[188:189], s[18:19], -v[110:111]
	v_fma_f64 v[104:105], v[190:191], s[18:19], -v[46:47]
	v_fma_f64 v[46:47], v[190:191], s[18:19], v[46:47]
	v_fma_f64 v[72:73], v[192:193], s[22:23], -v[40:41]
	v_fma_f64 v[40:41], v[192:193], s[22:23], v[40:41]
	v_add_f64 v[38:39], v[122:123], v[38:39]
	v_fma_f64 v[122:123], v[184:185], s[26:27], v[106:107]
	v_add_f64 v[28:29], v[110:111], v[28:29]
	v_mul_f64 v[110:111], v[206:207], s[38:39]
	v_fma_f64 v[106:107], v[184:185], s[26:27], -v[106:107]
	v_add_f64 v[18:19], v[104:105], v[18:19]
	v_add_f64 v[8:9], v[46:47], v[8:9]
	v_mul_f64 v[46:47], v[170:171], s[24:25]
	v_add_f64 v[16:17], v[72:73], v[16:17]
	v_mul_f64 v[72:73], v[172:173], s[50:51]
	;; [unrolled: 2-line block ×3, first 2 shown]
	v_add_f64 v[38:39], v[122:123], v[38:39]
	v_fma_f64 v[122:123], v[204:205], s[34:35], v[110:111]
	v_add_f64 v[28:29], v[106:107], v[28:29]
	v_fma_f64 v[110:111], v[204:205], s[34:35], -v[110:111]
	v_fma_f64 v[120:121], v[184:185], s[22:23], v[46:47]
	v_fma_f64 v[46:47], v[184:185], s[22:23], -v[46:47]
	v_fma_f64 v[104:105], v[192:193], s[26:27], -v[72:73]
	v_fma_f64 v[72:73], v[192:193], s[26:27], v[72:73]
	v_add_f64 v[38:39], v[122:123], v[38:39]
	v_mul_f64 v[122:123], v[208:209], s[16:17]
	v_add_f64 v[28:29], v[110:111], v[28:29]
	v_mul_f64 v[110:111], v[243:244], s[24:25]
	v_add_f64 v[36:37], v[120:121], v[36:37]
	v_add_f64 v[26:27], v[46:47], v[26:27]
	v_fma_f64 v[46:47], v[182:183], s[2:3], -v[40:41]
	v_fma_f64 v[40:41], v[182:183], s[2:3], v[40:41]
	v_add_f64 v[8:9], v[72:73], v[8:9]
	v_mul_f64 v[72:73], v[206:207], s[0:1]
	v_add_f64 v[18:19], v[104:105], v[18:19]
	v_fma_f64 v[42:43], v[186:187], s[14:15], -v[122:123]
	v_fma_f64 v[112:113], v[202:203], s[22:23], v[110:111]
	v_fma_f64 v[110:111], v[202:203], s[22:23], -v[110:111]
	v_add_f64 v[16:17], v[46:47], v[16:17]
	v_mul_f64 v[46:47], v[174:175], s[38:39]
	v_add_f64 v[6:7], v[40:41], v[6:7]
	v_fma_f64 v[120:121], v[204:205], s[2:3], v[72:73]
	v_fma_f64 v[72:73], v[204:205], s[2:3], -v[72:73]
	v_mul_f64 v[40:41], v[214:215], s[52:53]
	v_fma_f64 v[104:105], v[182:183], s[34:35], -v[46:47]
	v_fma_f64 v[46:47], v[182:183], s[34:35], v[46:47]
	v_add_f64 v[36:37], v[120:121], v[36:37]
	v_add_f64 v[26:27], v[72:73], v[26:27]
	v_fma_f64 v[72:73], v[210:211], s[14:15], -v[40:41]
	v_fma_f64 v[40:41], v[210:211], s[14:15], v[40:41]
	v_add_f64 v[18:19], v[104:105], v[18:19]
	v_mul_f64 v[104:105], v[247:248], s[36:37]
	v_add_f64 v[8:9], v[46:47], v[8:9]
	v_mul_f64 v[46:47], v[247:248], s[52:53]
	;; [unrolled: 2-line block ×4, first 2 shown]
	v_fma_f64 v[108:109], v[241:242], s[30:31], v[104:105]
	v_fma_f64 v[104:105], v[241:242], s[30:31], -v[104:105]
	v_fma_f64 v[106:107], v[241:242], s[14:15], v[46:47]
	v_fma_f64 v[46:47], v[241:242], s[14:15], -v[46:47]
	v_fma_f64 v[100:101], v[210:211], s[30:31], -v[72:73]
	v_fma_f64 v[72:73], v[210:211], s[30:31], v[72:73]
	v_fma_f64 v[120:121], v[186:187], s[34:35], -v[40:41]
	v_fma_f64 v[40:41], v[186:187], s[34:35], v[40:41]
	v_add_f64 v[38:39], v[108:109], v[38:39]
	v_mul_f64 v[108:109], v[218:219], s[24:25]
	v_add_f64 v[36:37], v[106:107], v[36:37]
	v_add_f64 v[26:27], v[46:47], v[26:27]
	;; [unrolled: 1-line block ×3, first 2 shown]
	v_mul_f64 v[100:101], v[218:219], s[46:47]
	v_mul_f64 v[106:107], v[243:244], s[46:47]
	v_add_f64 v[8:9], v[72:73], v[8:9]
	v_add_f64 v[28:29], v[104:105], v[28:29]
	v_mul_f64 v[104:105], v[249:250], s[16:17]
	v_add_f64 v[4:5], v[120:121], v[4:5]
	v_mul_f64 v[120:121], v[251:252], s[20:21]
	v_add_f64 v[40:41], v[40:41], v[14:15]
	v_add_f64 v[38:39], v[112:113], v[38:39]
	v_fma_f64 v[46:47], v[196:197], s[22:23], -v[108:109]
	v_fma_f64 v[108:109], v[196:197], s[22:23], v[108:109]
	v_fma_f64 v[112:113], v[198:199], s[26:27], v[118:119]
	v_fma_f64 v[118:119], v[198:199], s[26:27], -v[118:119]
	v_fma_f64 v[102:103], v[196:197], s[30:31], -v[100:101]
	v_fma_f64 v[72:73], v[202:203], s[30:31], v[106:107]
	v_fma_f64 v[100:101], v[196:197], s[30:31], v[100:101]
	v_fma_f64 v[106:107], v[202:203], s[30:31], -v[106:107]
	v_add_f64 v[28:29], v[110:111], v[28:29]
	v_mul_f64 v[110:111], v[253:254], s[20:21]
	v_fma_f64 v[14:15], v[180:181], s[18:19], -v[120:121]
	v_add_f64 v[18:19], v[46:47], v[18:19]
	v_add_f64 v[8:9], v[108:109], v[8:9]
	v_fma_f64 v[108:109], v[198:199], s[22:23], v[114:115]
	v_fma_f64 v[114:115], v[198:199], s[34:35], -v[146:147]
	v_add_f64 v[16:17], v[102:103], v[16:17]
	v_mul_f64 v[102:103], v[208:209], s[28:29]
	v_add_f64 v[36:37], v[72:73], v[36:37]
	v_mul_f64 v[72:73], v[251:252], s[24:25]
	v_mul_f64 v[146:147], v[251:252], s[12:13]
	v_add_f64 v[6:7], v[100:101], v[6:7]
	v_add_f64 v[26:27], v[106:107], v[26:27]
	v_mul_f64 v[100:101], v[253:254], s[24:25]
	v_fma_f64 v[106:107], v[186:187], s[14:15], v[122:123]
	v_mul_f64 v[122:123], v[251:252], s[16:17]
	v_fma_f64 v[166:167], v[228:229], s[18:19], v[110:111]
	v_fma_f64 v[110:111], v[228:229], s[18:19], -v[110:111]
	v_add_f64 v[42:43], v[42:43], v[18:19]
	s_clause 0x1
	buffer_load_dword v18, off, s[60:63], 0 offset:264
	buffer_load_dword v19, off, s[60:63], 0 offset:268
	v_add_f64 v[108:109], v[108:109], v[22:23]
	v_add_f64 v[114:115], v[114:115], v[34:35]
	v_fma_f64 v[34:35], v[228:229], s[2:3], v[158:159]
	v_fma_f64 v[46:47], v[186:187], s[26:27], -v[102:103]
	v_fma_f64 v[102:103], v[186:187], s[26:27], v[102:103]
	v_add_f64 v[36:37], v[112:113], v[36:37]
	v_fma_f64 v[112:113], v[180:181], s[18:19], v[120:121]
	v_fma_f64 v[120:121], v[228:229], s[4:5], v[160:161]
	v_add_f64 v[118:119], v[118:119], v[26:27]
	v_fma_f64 v[160:161], v[228:229], s[4:5], -v[160:161]
	v_add_f64 v[106:107], v[106:107], v[8:9]
	v_fma_f64 v[22:23], v[180:181], s[14:15], -v[122:123]
	v_fma_f64 v[122:123], v[180:181], s[14:15], v[122:123]
	v_fma_f64 v[158:159], v[228:229], s[2:3], -v[158:159]
	v_add_f64 v[8:9], v[166:167], v[108:109]
	v_add_f64 v[16:17], v[46:47], v[16:17]
	v_fma_f64 v[46:47], v[198:199], s[14:15], v[104:105]
	v_add_f64 v[102:103], v[102:103], v[6:7]
	v_fma_f64 v[104:105], v[198:199], s[14:15], -v[104:105]
	v_add_f64 v[38:39], v[46:47], v[38:39]
	v_add_f64 v[46:47], v[116:117], v[24:25]
	v_fma_f64 v[24:25], v[180:181], s[4:5], -v[146:147]
	v_fma_f64 v[116:117], v[180:181], s[2:3], -v[156:157]
	v_fma_f64 v[146:147], v[180:181], s[4:5], v[146:147]
	v_fma_f64 v[156:157], v[180:181], s[2:3], v[156:157]
	v_add_f64 v[104:105], v[104:105], v[28:29]
	v_add_f64 v[28:29], v[110:111], v[32:33]
	;; [unrolled: 1-line block ×3, first 2 shown]
	s_waitcnt vmcnt(0)
	v_add_f64 v[164:165], v[2:3], v[18:19]
	v_fma_f64 v[18:19], v[180:181], s[22:23], -v[72:73]
	v_fma_f64 v[2:3], v[180:181], s[22:23], v[72:73]
	v_fma_f64 v[72:73], v[228:229], s[22:23], -v[100:101]
	v_fma_f64 v[100:101], v[228:229], s[22:23], v[100:101]
	v_add_f64 v[26:27], v[164:165], v[224:225]
	v_add_f64 v[6:7], v[18:19], v[0:1]
	s_clause 0x1
	buffer_load_dword v0, off, s[60:63], 0 offset:256
	buffer_load_dword v1, off, s[60:63], 0 offset:260
	v_add_f64 v[18:19], v[24:25], v[16:17]
	v_add_f64 v[16:17], v[120:121], v[36:37]
	buffer_load_dword v37, off, s[60:63], 0 offset:220 ; 4-byte Folded Reload
	v_add_f64 v[2:3], v[2:3], v[10:11]
	v_add_f64 v[10:11], v[14:15], v[20:21]
	;; [unrolled: 1-line block ×4, first 2 shown]
	buffer_load_dword v45, off, s[60:63], 0 offset:216 ; 4-byte Folded Reload
	v_add_f64 v[22:23], v[116:117], v[42:43]
	v_add_f64 v[20:21], v[34:35], v[38:39]
	v_mov_b32_e32 v36, 51
	v_add_f64 v[34:35], v[122:123], v[40:41]
	v_add_f64 v[38:39], v[146:147], v[102:103]
	v_add_f64 v[42:43], v[156:157], v[106:107]
	v_add_f64 v[40:41], v[158:159], v[104:105]
	s_waitcnt vmcnt(2)
	v_add_f64 v[24:25], v[12:13], v[0:1]
	v_add_f64 v[12:13], v[144:145], v[46:47]
	;; [unrolled: 1-line block ×3, first 2 shown]
	s_waitcnt vmcnt(1)
	v_mul_u32_u24_sdwa v44, v37, v36 dst_sel:DWORD dst_unused:UNUSED_PAD src0_sel:WORD_0 src1_sel:DWORD
	v_add_f64 v[30:31], v[112:113], v[74:75]
	v_add_f64 v[36:37], v[160:161], v[118:119]
	s_waitcnt vmcnt(0)
	v_add_lshl_u32 v44, v44, v45, 4
	ds_write_b128 v44, v[24:27]
	ds_write_b128 v44, v[20:23] offset:48
	ds_write_b128 v44, v[16:19] offset:96
	;; [unrolled: 1-line block ×16, first 2 shown]
.LBB0_21:
	s_or_b32 exec_lo, exec_lo, s33
	s_waitcnt lgkmcnt(0)
	s_waitcnt_vscnt null, 0x0
	s_barrier
	buffer_gl0_inv
	ds_read_b128 v[0:3], v255 offset:1632
	ds_read_b128 v[4:7], v255 offset:3264
	;; [unrolled: 1-line block ×10, first 2 shown]
	ds_read_b128 v[40:43], v255
	ds_read_b128 v[44:47], v255 offset:816
	ds_read_b128 v[72:75], v255 offset:5712
	;; [unrolled: 1-line block ×3, first 2 shown]
	s_mov_b32 s4, 0x37e14327
	s_mov_b32 s0, 0x36b3c0b5
	;; [unrolled: 1-line block ×9, first 2 shown]
	s_waitcnt lgkmcnt(13)
	v_mul_f64 v[80:81], v[62:63], v[2:3]
	v_mul_f64 v[82:83], v[62:63], v[0:1]
	s_waitcnt lgkmcnt(12)
	v_mul_f64 v[84:85], v[58:59], v[6:7]
	v_mul_f64 v[86:87], v[58:59], v[4:5]
	s_waitcnt lgkmcnt(11)
	v_mul_f64 v[88:89], v[70:71], v[10:11]
	s_waitcnt lgkmcnt(10)
	v_mul_f64 v[90:91], v[66:67], v[14:15]
	v_mul_f64 v[92:93], v[66:67], v[12:13]
	;; [unrolled: 1-line block ×3, first 2 shown]
	s_waitcnt lgkmcnt(9)
	v_mul_f64 v[96:97], v[54:55], v[18:19]
	v_mul_f64 v[98:99], v[54:55], v[16:17]
	s_waitcnt lgkmcnt(8)
	v_mul_f64 v[100:101], v[50:51], v[22:23]
	v_mul_f64 v[102:103], v[50:51], v[20:21]
	s_mov_b32 s20, 0xb247c609
	s_mov_b32 s17, 0x3fe77f67
	;; [unrolled: 1-line block ×9, first 2 shown]
	s_waitcnt lgkmcnt(0)
	v_fma_f64 v[0:1], v[60:61], v[0:1], v[80:81]
	v_fma_f64 v[2:3], v[60:61], v[2:3], -v[82:83]
	v_fma_f64 v[4:5], v[56:57], v[4:5], v[84:85]
	v_fma_f64 v[6:7], v[56:57], v[6:7], -v[86:87]
	v_fma_f64 v[8:9], v[68:69], v[8:9], v[88:89]
	v_fma_f64 v[12:13], v[64:65], v[12:13], v[90:91]
	v_fma_f64 v[14:15], v[64:65], v[14:15], -v[92:93]
	v_fma_f64 v[10:11], v[68:69], v[10:11], -v[94:95]
	v_mul_f64 v[80:81], v[62:63], v[26:27]
	v_mul_f64 v[62:63], v[62:63], v[24:25]
	;; [unrolled: 1-line block ×10, first 2 shown]
	v_fma_f64 v[16:17], v[52:53], v[16:17], v[96:97]
	v_fma_f64 v[18:19], v[52:53], v[18:19], -v[98:99]
	v_fma_f64 v[20:21], v[48:49], v[20:21], v[100:101]
	v_fma_f64 v[22:23], v[48:49], v[22:23], -v[102:103]
	v_mul_f64 v[90:91], v[50:51], v[78:79]
	v_mul_f64 v[50:51], v[50:51], v[76:77]
	s_barrier
	buffer_gl0_inv
	v_add_f64 v[96:97], v[4:5], v[8:9]
	v_add_f64 v[92:93], v[0:1], v[12:13]
	;; [unrolled: 1-line block ×4, first 2 shown]
	v_fma_f64 v[24:25], v[60:61], v[24:25], v[80:81]
	v_fma_f64 v[26:27], v[60:61], v[26:27], -v[62:63]
	v_fma_f64 v[28:29], v[56:57], v[28:29], v[82:83]
	v_fma_f64 v[30:31], v[56:57], v[30:31], -v[58:59]
	;; [unrolled: 2-line block ×5, first 2 shown]
	v_add_f64 v[4:5], v[4:5], -v[8:9]
	v_add_f64 v[6:7], v[6:7], -v[10:11]
	v_add_f64 v[56:57], v[16:17], v[20:21]
	v_add_f64 v[58:59], v[18:19], v[22:23]
	v_fma_f64 v[54:55], v[48:49], v[76:77], v[90:91]
	v_fma_f64 v[48:49], v[48:49], v[78:79], -v[50:51]
	v_add_f64 v[8:9], v[20:21], -v[16:17]
	v_add_f64 v[10:11], v[22:23], -v[18:19]
	;; [unrolled: 1-line block ×3, first 2 shown]
	v_add_f64 v[62:63], v[96:97], v[92:93]
	v_add_f64 v[14:15], v[2:3], -v[14:15]
	v_add_f64 v[64:65], v[98:99], v[94:95]
	v_add_f64 v[16:17], v[24:25], v[36:37]
	;; [unrolled: 1-line block ×3, first 2 shown]
	v_add_f64 v[20:21], v[24:25], -v[36:37]
	v_add_f64 v[22:23], v[26:27], -v[38:39]
	v_add_f64 v[24:25], v[28:29], v[32:33]
	v_add_f64 v[26:27], v[30:31], v[34:35]
	v_add_f64 v[28:29], v[28:29], -v[32:33]
	v_add_f64 v[30:31], v[30:31], -v[34:35]
	;; [unrolled: 1-line block ×6, first 2 shown]
	v_add_f64 v[36:37], v[60:61], v[54:55]
	v_add_f64 v[54:55], v[54:55], -v[60:61]
	v_add_f64 v[66:67], v[10:11], v[6:7]
	v_add_f64 v[38:39], v[56:57], v[62:63]
	;; [unrolled: 1-line block ×4, first 2 shown]
	v_add_f64 v[48:49], v[48:49], -v[52:53]
	v_add_f64 v[52:53], v[8:9], -v[4:5]
	;; [unrolled: 1-line block ×3, first 2 shown]
	v_add_f64 v[64:65], v[8:9], v[4:5]
	v_add_f64 v[4:5], v[4:5], -v[12:13]
	v_add_f64 v[72:73], v[6:7], -v[14:15]
	v_add_f64 v[60:61], v[96:97], -v[92:93]
	v_add_f64 v[62:63], v[98:99], -v[94:95]
	v_add_f64 v[68:69], v[24:25], v[16:17]
	v_add_f64 v[70:71], v[26:27], v[18:19]
	v_add_f64 v[8:9], v[12:13], -v[8:9]
	v_add_f64 v[88:89], v[28:29], -v[20:21]
	v_mul_f64 v[6:7], v[0:1], s[4:5]
	v_mul_f64 v[74:75], v[2:3], s[4:5]
	;; [unrolled: 1-line block ×4, first 2 shown]
	v_add_f64 v[80:81], v[16:17], -v[36:37]
	v_add_f64 v[84:85], v[54:55], -v[28:29]
	;; [unrolled: 1-line block ×3, first 2 shown]
	v_add_f64 v[0:1], v[40:41], v[38:39]
	v_add_f64 v[40:41], v[18:19], -v[56:57]
	v_add_f64 v[2:3], v[42:43], v[50:51]
	v_add_f64 v[42:43], v[36:37], -v[24:25]
	v_add_f64 v[82:83], v[56:57], -v[26:27]
	v_mul_f64 v[52:53], v[52:53], s[12:13]
	v_add_f64 v[86:87], v[48:49], -v[30:31]
	v_add_f64 v[10:11], v[14:15], -v[10:11]
	v_mul_f64 v[58:59], v[58:59], s[12:13]
	v_add_f64 v[12:13], v[64:65], v[12:13]
	v_add_f64 v[14:15], v[66:67], v[14:15]
	;; [unrolled: 1-line block ×4, first 2 shown]
	v_mul_f64 v[64:65], v[4:5], s[2:3]
	v_mul_f64 v[66:67], v[72:73], s[2:3]
	v_fma_f64 v[32:33], v[32:33], s[0:1], v[6:7]
	v_fma_f64 v[34:35], v[34:35], s[0:1], v[74:75]
	v_fma_f64 v[68:69], v[60:61], s[16:17], -v[76:77]
	v_fma_f64 v[70:71], v[62:63], s[16:17], -v[78:79]
	;; [unrolled: 1-line block ×4, first 2 shown]
	v_add_f64 v[16:17], v[24:25], -v[16:17]
	v_add_f64 v[18:19], v[26:27], -v[18:19]
	v_add_f64 v[24:25], v[54:55], v[28:29]
	v_add_f64 v[26:27], v[48:49], v[30:31]
	v_mul_f64 v[28:29], v[80:81], s[4:5]
	v_mul_f64 v[30:31], v[40:41], s[4:5]
	v_fma_f64 v[74:75], v[8:9], s[20:21], v[52:53]
	v_fma_f64 v[52:53], v[4:5], s[2:3], -v[52:53]
	v_mul_f64 v[40:41], v[42:43], s[0:1]
	v_add_f64 v[48:49], v[22:23], -v[48:49]
	v_mul_f64 v[78:79], v[84:85], s[12:13]
	v_mul_f64 v[80:81], v[90:91], s[2:3]
	v_add_f64 v[4:5], v[44:45], v[36:37]
	v_add_f64 v[6:7], v[46:47], v[56:57]
	v_mul_f64 v[44:45], v[82:83], s[0:1]
	v_add_f64 v[46:47], v[20:21], -v[54:55]
	v_mul_f64 v[54:55], v[86:87], s[12:13]
	v_mul_f64 v[84:85], v[88:89], s[2:3]
	v_fma_f64 v[38:39], v[38:39], s[14:15], v[0:1]
	v_fma_f64 v[50:51], v[50:51], s[14:15], v[2:3]
	;; [unrolled: 1-line block ×3, first 2 shown]
	v_fma_f64 v[8:9], v[8:9], s[22:23], -v[64:65]
	v_fma_f64 v[10:11], v[10:11], s[22:23], -v[66:67]
	;; [unrolled: 1-line block ×3, first 2 shown]
	v_add_f64 v[20:21], v[24:25], v[20:21]
	v_add_f64 v[22:23], v[26:27], v[22:23]
	s_mul_i32 s4, s8, 0xee
	v_fma_f64 v[40:41], v[16:17], s[16:17], -v[40:41]
	v_fma_f64 v[16:17], v[16:17], s[18:19], -v[28:29]
	v_fma_f64 v[24:25], v[36:37], s[14:15], v[4:5]
	v_fma_f64 v[26:27], v[56:57], s[14:15], v[6:7]
	;; [unrolled: 1-line block ×4, first 2 shown]
	v_fma_f64 v[44:45], v[18:19], s[16:17], -v[44:45]
	v_fma_f64 v[18:19], v[18:19], s[18:19], -v[30:31]
	v_fma_f64 v[28:29], v[48:49], s[20:21], v[54:55]
	v_fma_f64 v[30:31], v[46:47], s[20:21], v[78:79]
	v_fma_f64 v[48:49], v[48:49], s[22:23], -v[80:81]
	v_fma_f64 v[46:47], v[46:47], s[22:23], -v[84:85]
	;; [unrolled: 1-line block ×4, first 2 shown]
	s_mov_b32 s0, 0x37c3f68c
	s_mov_b32 s1, 0xbfdc38aa
	v_add_f64 v[32:33], v[32:33], v[38:39]
	v_add_f64 v[34:35], v[34:35], v[50:51]
	;; [unrolled: 1-line block ×6, first 2 shown]
	v_fma_f64 v[60:61], v[14:15], s[0:1], v[76:77]
	v_fma_f64 v[62:63], v[12:13], s[0:1], v[74:75]
	;; [unrolled: 1-line block ×6, first 2 shown]
	v_add_f64 v[72:73], v[36:37], v[24:25]
	v_add_f64 v[74:75], v[42:43], v[26:27]
	v_fma_f64 v[84:85], v[22:23], s[0:1], v[28:29]
	v_fma_f64 v[86:87], v[20:21], s[0:1], v[30:31]
	v_add_f64 v[80:81], v[16:17], v[24:25]
	v_add_f64 v[82:83], v[18:19], v[26:27]
	v_fma_f64 v[48:49], v[22:23], s[0:1], v[48:49]
	v_fma_f64 v[88:89], v[20:21], s[0:1], v[46:47]
	;; [unrolled: 4-line block ×3, first 2 shown]
	s_mov_b32 s2, 0x16f26017
	s_mov_b32 s3, 0x3f56f260
	s_mul_hi_u32 s1, s8, 0xee
	v_add_f64 v[8:9], v[60:61], v[32:33]
	v_add_f64 v[10:11], v[34:35], -v[62:63]
	v_add_f64 v[12:13], v[68:69], v[38:39]
	v_add_f64 v[14:15], v[50:51], -v[70:71]
	v_add_f64 v[16:17], v[64:65], -v[58:59]
	v_add_f64 v[18:19], v[52:53], v[66:67]
	v_add_f64 v[20:21], v[58:59], v[64:65]
	v_add_f64 v[22:23], v[66:67], -v[52:53]
	v_add_f64 v[24:25], v[38:39], -v[68:69]
	v_add_f64 v[26:27], v[70:71], v[50:51]
	v_add_f64 v[28:29], v[32:33], -v[60:61]
	v_add_f64 v[30:31], v[62:63], v[34:35]
	v_add_f64 v[32:33], v[84:85], v[72:73]
	v_add_f64 v[34:35], v[74:75], -v[86:87]
	v_add_f64 v[36:37], v[48:49], v[80:81]
	v_add_f64 v[38:39], v[82:83], -v[88:89]
	v_add_f64 v[40:41], v[76:77], -v[44:45]
	v_add_f64 v[42:43], v[46:47], v[78:79]
	v_add_f64 v[44:45], v[44:45], v[76:77]
	v_add_f64 v[46:47], v[78:79], -v[46:47]
	v_add_f64 v[48:49], v[80:81], -v[48:49]
	v_add_f64 v[50:51], v[88:89], v[82:83]
	v_add_f64 v[52:53], v[72:73], -v[84:85]
	v_add_f64 v[54:55], v[86:87], v[74:75]
	ds_write_b128 v255, v[0:3]
	ds_write_b128 v255, v[8:11] offset:816
	ds_write_b128 v255, v[12:15] offset:1632
	ds_write_b128 v255, v[16:19] offset:2448
	ds_write_b128 v255, v[20:23] offset:3264
	ds_write_b128 v255, v[24:27] offset:4080
	ds_write_b128 v255, v[28:31] offset:4896
	ds_write_b128 v255, v[4:7] offset:5712
	ds_write_b128 v255, v[32:35] offset:6528
	ds_write_b128 v255, v[36:39] offset:7344
	ds_write_b128 v255, v[40:43] offset:8160
	ds_write_b128 v255, v[44:47] offset:8976
	ds_write_b128 v255, v[48:51] offset:9792
	ds_write_b128 v255, v[52:55] offset:10608
	s_waitcnt lgkmcnt(0)
	s_barrier
	buffer_gl0_inv
	ds_read_b128 v[0:3], v255 offset:5712
	ds_read_b128 v[4:7], v255 offset:6528
	;; [unrolled: 1-line block ×8, first 2 shown]
	ds_read_b128 v[32:35], v255
	ds_read_b128 v[36:39], v255 offset:816
	ds_read_b128 v[40:43], v255 offset:1632
	;; [unrolled: 1-line block ×5, first 2 shown]
	s_waitcnt lgkmcnt(13)
	v_mul_f64 v[56:57], v[126:127], v[2:3]
	v_mul_f64 v[58:59], v[126:127], v[0:1]
	s_waitcnt lgkmcnt(12)
	v_mul_f64 v[60:61], v[130:131], v[6:7]
	v_mul_f64 v[62:63], v[130:131], v[4:5]
	;; [unrolled: 3-line block ×7, first 2 shown]
	v_fma_f64 v[0:1], v[124:125], v[0:1], v[56:57]
	v_fma_f64 v[2:3], v[124:125], v[2:3], -v[58:59]
	v_fma_f64 v[4:5], v[128:129], v[4:5], v[60:61]
	v_fma_f64 v[6:7], v[128:129], v[6:7], -v[62:63]
	;; [unrolled: 2-line block ×7, first 2 shown]
	s_waitcnt lgkmcnt(5)
	v_add_f64 v[0:1], v[32:33], -v[0:1]
	v_add_f64 v[2:3], v[34:35], -v[2:3]
	s_waitcnt lgkmcnt(4)
	v_add_f64 v[4:5], v[36:37], -v[4:5]
	v_add_f64 v[6:7], v[38:39], -v[6:7]
	;; [unrolled: 3-line block ×6, first 2 shown]
	v_add_f64 v[24:25], v[28:29], -v[24:25]
	v_add_f64 v[26:27], v[30:31], -v[26:27]
	v_fma_f64 v[32:33], v[32:33], 2.0, -v[0:1]
	v_fma_f64 v[34:35], v[34:35], 2.0, -v[2:3]
	;; [unrolled: 1-line block ×14, first 2 shown]
	ds_write_b128 v255, v[32:35]
	ds_write_b128 v255, v[0:3] offset:5712
	ds_write_b128 v255, v[36:39] offset:816
	;; [unrolled: 1-line block ×13, first 2 shown]
	s_waitcnt lgkmcnt(0)
	s_barrier
	buffer_gl0_inv
	ds_read_b128 v[0:3], v255
	ds_read_b128 v[4:7], v255 offset:3808
	ds_read_b128 v[8:11], v255 offset:816
	s_clause 0x3
	buffer_load_dword v34, off, s[60:63], 0 offset:40
	buffer_load_dword v35, off, s[60:63], 0 offset:44
	;; [unrolled: 1-line block ×4, first 2 shown]
	ds_read_b128 v[12:15], v255 offset:4624
	v_mad_u64_u32 v[30:31], null, s8, v232, 0
	s_waitcnt vmcnt(0) lgkmcnt(3)
	v_mul_f64 v[20:21], v[36:37], v[2:3]
	v_mul_f64 v[22:23], v[36:37], v[0:1]
	s_clause 0x5
	buffer_load_dword v36, off, s[60:63], 0 offset:200
	buffer_load_dword v37, off, s[60:63], 0 offset:204
	;; [unrolled: 1-line block ×6, first 2 shown]
	v_fma_f64 v[20:21], v[34:35], v[0:1], v[20:21]
	v_fma_f64 v[22:23], v[34:35], v[2:3], -v[22:23]
	ds_read_b128 v[0:3], v255 offset:8432
	s_waitcnt vmcnt(2) lgkmcnt(3)
	v_mul_f64 v[24:25], v[38:39], v[6:7]
	s_waitcnt vmcnt(1)
	v_mov_b32_e32 v32, v16
	s_waitcnt vmcnt(0)
	ds_read_b128 v[16:19], v255 offset:7616
	s_clause 0x7
	buffer_load_dword v46, off, s[60:63], 0 offset:184
	buffer_load_dword v47, off, s[60:63], 0 offset:188
	;; [unrolled: 1-line block ×8, first 2 shown]
	v_mul_f64 v[26:27], v[38:39], v[4:5]
	v_mad_u64_u32 v[28:29], null, s10, v32, 0
	v_mad_u64_u32 v[32:33], null, s11, v32, v[29:30]
	v_fma_f64 v[24:25], v[36:37], v[4:5], v[24:25]
	v_mov_b32_e32 v29, v32
	v_mad_u64_u32 v[4:5], null, s9, v232, v[31:32]
	v_fma_f64 v[26:27], v[36:37], v[6:7], -v[26:27]
	v_lshlrev_b64 v[5:6], 4, v[28:29]
	v_mov_b32_e32 v31, v4
	v_add_co_u32 v32, s0, s6, v5
	v_add_co_ci_u32_e64 v41, s0, s7, v6, s0
	v_mul_f64 v[4:5], v[20:21], s[2:3]
	v_mul_f64 v[6:7], v[22:23], s[2:3]
	s_mul_i32 s0, s9, 0xee
	s_add_i32 s5, s1, s0
	s_mul_hi_u32 s1, s8, 0xfffffe57
	v_mul_f64 v[20:21], v[24:25], s[2:3]
	v_lshlrev_b64 v[24:25], 4, v[30:31]
	s_lshl_b64 s[4:5], s[4:5], 4
	s_sub_i32 s1, s1, s8
	v_mul_f64 v[22:23], v[26:27], s[2:3]
	s_waitcnt vmcnt(4) lgkmcnt(0)
	v_mul_f64 v[33:34], v[48:49], v[18:19]
	s_waitcnt vmcnt(0)
	v_mul_f64 v[37:38], v[44:45], v[10:11]
	v_mul_f64 v[35:36], v[48:49], v[16:17]
	;; [unrolled: 1-line block ×3, first 2 shown]
	v_fma_f64 v[16:17], v[46:47], v[16:17], v[33:34]
	v_fma_f64 v[26:27], v[42:43], v[8:9], v[37:38]
	v_add_co_u32 v8, s0, v32, v24
	v_add_co_ci_u32_e64 v9, s0, v41, v25, s0
	v_fma_f64 v[18:19], v[46:47], v[18:19], -v[35:36]
	v_add_co_u32 v24, s0, v8, s4
	v_add_co_ci_u32_e64 v25, s0, s5, v9, s0
	global_store_dwordx4 v[8:9], v[4:7], off
	global_store_dwordx4 v[24:25], v[20:23], off
	v_fma_f64 v[28:29], v[42:43], v[10:11], -v[39:40]
	s_clause 0x3
	buffer_load_dword v50, off, s[60:63], 0 offset:72
	buffer_load_dword v51, off, s[60:63], 0 offset:76
	;; [unrolled: 1-line block ×4, first 2 shown]
	v_add_co_u32 v44, s0, v24, s4
	ds_read_b128 v[8:11], v255 offset:1632
	v_add_co_ci_u32_e64 v45, s0, s5, v25, s0
	s_clause 0x3
	buffer_load_dword v56, off, s[60:63], 0 offset:104
	buffer_load_dword v57, off, s[60:63], 0 offset:108
	;; [unrolled: 1-line block ×4, first 2 shown]
	v_mul_f64 v[4:5], v[16:17], s[2:3]
	v_mul_f64 v[16:17], v[26:27], s[2:3]
	ds_read_b128 v[20:23], v255 offset:5440
	ds_read_b128 v[24:27], v255 offset:9248
	;; [unrolled: 1-line block ×4, first 2 shown]
	v_mul_f64 v[6:7], v[18:19], s[2:3]
	s_mul_i32 s0, s9, 0xfffffe57
	s_add_i32 s1, s1, s0
	s_mul_i32 s0, s8, 0xfffffe57
	s_lshl_b64 s[6:7], s[0:1], 4
	v_mul_f64 v[18:19], v[28:29], s[2:3]
	ds_read_b128 v[28:31], v255 offset:2448
	s_clause 0x3
	buffer_load_dword v72, off, s[60:63], 0 offset:24
	buffer_load_dword v73, off, s[60:63], 0 offset:28
	;; [unrolled: 1-line block ×4, first 2 shown]
	s_waitcnt vmcnt(8)
	v_mul_f64 v[40:41], v[52:53], v[14:15]
	v_mul_f64 v[42:43], v[52:53], v[12:13]
	s_waitcnt vmcnt(4)
	v_mul_f64 v[46:47], v[58:59], v[2:3]
	v_mul_f64 v[48:49], v[58:59], v[0:1]
	v_fma_f64 v[12:13], v[50:51], v[12:13], v[40:41]
	v_fma_f64 v[14:15], v[50:51], v[14:15], -v[42:43]
	s_waitcnt vmcnt(0) lgkmcnt(5)
	v_mul_f64 v[40:41], v[74:75], v[10:11]
	v_mul_f64 v[42:43], v[74:75], v[8:9]
	s_clause 0x3
	buffer_load_dword v74, off, s[60:63], 0 offset:56
	buffer_load_dword v75, off, s[60:63], 0 offset:60
	;; [unrolled: 1-line block ×4, first 2 shown]
	v_add_co_u32 v50, s0, v44, s6
	v_fma_f64 v[46:47], v[56:57], v[0:1], v[46:47]
	v_fma_f64 v[48:49], v[56:57], v[2:3], -v[48:49]
	v_add_co_ci_u32_e64 v51, s0, s7, v45, s0
	v_mul_f64 v[0:1], v[12:13], s[2:3]
	v_mul_f64 v[2:3], v[14:15], s[2:3]
	v_fma_f64 v[8:9], v[72:73], v[8:9], v[40:41]
	v_fma_f64 v[10:11], v[72:73], v[10:11], -v[42:43]
	v_add_co_u32 v40, s0, v50, s4
	v_add_co_ci_u32_e64 v41, s0, s5, v51, s0
	v_mul_f64 v[8:9], v[8:9], s[2:3]
	v_mul_f64 v[10:11], v[10:11], s[2:3]
	s_waitcnt vmcnt(0) lgkmcnt(4)
	v_mul_f64 v[52:53], v[76:77], v[22:23]
	v_mul_f64 v[54:55], v[76:77], v[20:21]
	s_clause 0x3
	buffer_load_dword v76, off, s[60:63], 0 offset:88
	buffer_load_dword v77, off, s[60:63], 0 offset:92
	;; [unrolled: 1-line block ×4, first 2 shown]
	v_fma_f64 v[12:13], v[74:75], v[20:21], v[52:53]
	v_fma_f64 v[14:15], v[74:75], v[22:23], -v[54:55]
	v_mul_f64 v[12:13], v[12:13], s[2:3]
	v_mul_f64 v[14:15], v[14:15], s[2:3]
	s_waitcnt vmcnt(0) lgkmcnt(3)
	v_mul_f64 v[56:57], v[78:79], v[26:27]
	v_mul_f64 v[58:59], v[78:79], v[24:25]
	s_clause 0x3
	buffer_load_dword v78, off, s[60:63], 0 offset:136
	buffer_load_dword v79, off, s[60:63], 0 offset:140
	;; [unrolled: 1-line block ×4, first 2 shown]
	s_waitcnt vmcnt(0) lgkmcnt(0)
	v_mul_f64 v[60:61], v[80:81], v[30:31]
	v_mul_f64 v[62:63], v[80:81], v[28:29]
	s_clause 0x3
	buffer_load_dword v80, off, s[60:63], 0 offset:152
	buffer_load_dword v81, off, s[60:63], 0 offset:156
	;; [unrolled: 1-line block ×4, first 2 shown]
	v_fma_f64 v[20:21], v[78:79], v[28:29], v[60:61]
	v_fma_f64 v[22:23], v[78:79], v[30:31], -v[62:63]
	v_mul_f64 v[20:21], v[20:21], s[2:3]
	v_mul_f64 v[22:23], v[22:23], s[2:3]
	s_waitcnt vmcnt(0)
	v_mul_f64 v[64:65], v[82:83], v[34:35]
	v_mul_f64 v[66:67], v[82:83], v[32:33]
	s_clause 0x3
	buffer_load_dword v82, off, s[60:63], 0 offset:168
	buffer_load_dword v83, off, s[60:63], 0 offset:172
	;; [unrolled: 1-line block ×4, first 2 shown]
	global_store_dwordx4 v[44:45], v[4:7], off
	global_store_dwordx4 v[50:51], v[16:19], off
	v_fma_f64 v[16:17], v[76:77], v[24:25], v[56:57]
	v_fma_f64 v[18:19], v[76:77], v[26:27], -v[58:59]
	v_mul_f64 v[4:5], v[46:47], s[2:3]
	v_mul_f64 v[6:7], v[48:49], s[2:3]
	global_store_dwordx4 v[40:41], v[0:3], off
	v_fma_f64 v[24:25], v[80:81], v[32:33], v[64:65]
	v_fma_f64 v[26:27], v[80:81], v[34:35], -v[66:67]
	v_add_co_u32 v32, s0, v40, s4
	v_add_co_ci_u32_e64 v33, s0, s5, v41, s0
	v_mul_f64 v[16:17], v[16:17], s[2:3]
	v_add_co_u32 v34, s0, v32, s6
	v_add_co_ci_u32_e64 v35, s0, s7, v33, s0
	v_mul_f64 v[18:19], v[18:19], s[2:3]
	global_store_dwordx4 v[32:33], v[4:7], off
	global_store_dwordx4 v[34:35], v[8:11], off
	v_mul_f64 v[24:25], v[24:25], s[2:3]
	v_mul_f64 v[26:27], v[26:27], s[2:3]
	s_waitcnt vmcnt(0)
	v_mul_f64 v[68:69], v[84:85], v[38:39]
	v_mul_f64 v[70:71], v[84:85], v[36:37]
	v_fma_f64 v[28:29], v[82:83], v[36:37], v[68:69]
	v_fma_f64 v[30:31], v[82:83], v[38:39], -v[70:71]
	v_add_co_u32 v36, s0, v34, s4
	v_add_co_ci_u32_e64 v37, s0, s5, v35, s0
	v_add_co_u32 v38, s0, v36, s4
	v_add_co_ci_u32_e64 v39, s0, s5, v37, s0
	;; [unrolled: 2-line block ×4, first 2 shown]
	v_mul_f64 v[28:29], v[28:29], s[2:3]
	v_mul_f64 v[30:31], v[30:31], s[2:3]
	v_add_co_u32 v0, s0, v4, s4
	v_add_co_ci_u32_e64 v1, s0, s5, v5, s0
	global_store_dwordx4 v[36:37], v[12:15], off
	global_store_dwordx4 v[38:39], v[16:19], off
	;; [unrolled: 1-line block ×5, first 2 shown]
	s_and_b32 exec_lo, exec_lo, vcc_lo
	s_cbranch_execz .LBB0_23
; %bb.22:
	s_clause 0x1
	buffer_load_dword v2, off, s[60:63], 0 offset:8
	buffer_load_dword v3, off, s[60:63], 0 offset:12
	s_waitcnt vmcnt(0)
	global_load_dwordx4 v[2:5], v[2:3], off offset:1216
	ds_read_b128 v[6:9], v255 offset:3264
	ds_read_b128 v[10:13], v255 offset:7072
	s_waitcnt vmcnt(0) lgkmcnt(1)
	v_mul_f64 v[14:15], v[8:9], v[4:5]
	v_mul_f64 v[4:5], v[6:7], v[4:5]
	v_fma_f64 v[6:7], v[6:7], v[2:3], v[14:15]
	v_fma_f64 v[4:5], v[2:3], v[8:9], -v[4:5]
	v_mul_f64 v[2:3], v[6:7], s[2:3]
	v_mul_f64 v[4:5], v[4:5], s[2:3]
	v_add_co_u32 v6, vcc_lo, v0, s6
	v_add_co_ci_u32_e32 v7, vcc_lo, s7, v1, vcc_lo
	v_add_co_u32 v8, vcc_lo, v6, s4
	v_add_co_ci_u32_e32 v9, vcc_lo, s5, v7, vcc_lo
	global_store_dwordx4 v[6:7], v[2:5], off
	s_clause 0x1
	buffer_load_dword v0, off, s[60:63], 0
	buffer_load_dword v1, off, s[60:63], 0 offset:4
	s_waitcnt vmcnt(0)
	global_load_dwordx4 v[0:3], v[0:1], off offset:928
	s_waitcnt vmcnt(0) lgkmcnt(0)
	v_mul_f64 v[4:5], v[12:13], v[2:3]
	v_mul_f64 v[2:3], v[10:11], v[2:3]
	v_fma_f64 v[4:5], v[10:11], v[0:1], v[4:5]
	v_fma_f64 v[2:3], v[0:1], v[12:13], -v[2:3]
	v_mul_f64 v[0:1], v[4:5], s[2:3]
	v_mul_f64 v[2:3], v[2:3], s[2:3]
	ds_read_b128 v[4:7], v255 offset:10880
	global_store_dwordx4 v[8:9], v[0:3], off
	global_load_dwordx4 v[0:3], v[245:246], off offset:640
	s_waitcnt vmcnt(0) lgkmcnt(0)
	v_mul_f64 v[10:11], v[6:7], v[2:3]
	v_mul_f64 v[2:3], v[4:5], v[2:3]
	v_fma_f64 v[4:5], v[4:5], v[0:1], v[10:11]
	v_fma_f64 v[2:3], v[0:1], v[6:7], -v[2:3]
	v_mul_f64 v[0:1], v[4:5], s[2:3]
	v_mul_f64 v[2:3], v[2:3], s[2:3]
	v_add_co_u32 v4, vcc_lo, v8, s4
	v_add_co_ci_u32_e32 v5, vcc_lo, s5, v9, vcc_lo
	global_store_dwordx4 v[4:5], v[0:3], off
.LBB0_23:
	s_endpgm
	.section	.rodata,"a",@progbits
	.p2align	6, 0x0
	.amdhsa_kernel bluestein_single_fwd_len714_dim1_dp_op_CI_CI
		.amdhsa_group_segment_fixed_size 11424
		.amdhsa_private_segment_fixed_size 688
		.amdhsa_kernarg_size 104
		.amdhsa_user_sgpr_count 6
		.amdhsa_user_sgpr_private_segment_buffer 1
		.amdhsa_user_sgpr_dispatch_ptr 0
		.amdhsa_user_sgpr_queue_ptr 0
		.amdhsa_user_sgpr_kernarg_segment_ptr 1
		.amdhsa_user_sgpr_dispatch_id 0
		.amdhsa_user_sgpr_flat_scratch_init 0
		.amdhsa_user_sgpr_private_segment_size 0
		.amdhsa_wavefront_size32 1
		.amdhsa_uses_dynamic_stack 0
		.amdhsa_system_sgpr_private_segment_wavefront_offset 1
		.amdhsa_system_sgpr_workgroup_id_x 1
		.amdhsa_system_sgpr_workgroup_id_y 0
		.amdhsa_system_sgpr_workgroup_id_z 0
		.amdhsa_system_sgpr_workgroup_info 0
		.amdhsa_system_vgpr_workitem_id 0
		.amdhsa_next_free_vgpr 256
		.amdhsa_next_free_sgpr 64
		.amdhsa_reserve_vcc 1
		.amdhsa_reserve_flat_scratch 0
		.amdhsa_float_round_mode_32 0
		.amdhsa_float_round_mode_16_64 0
		.amdhsa_float_denorm_mode_32 3
		.amdhsa_float_denorm_mode_16_64 3
		.amdhsa_dx10_clamp 1
		.amdhsa_ieee_mode 1
		.amdhsa_fp16_overflow 0
		.amdhsa_workgroup_processor_mode 1
		.amdhsa_memory_ordered 1
		.amdhsa_forward_progress 0
		.amdhsa_shared_vgpr_count 0
		.amdhsa_exception_fp_ieee_invalid_op 0
		.amdhsa_exception_fp_denorm_src 0
		.amdhsa_exception_fp_ieee_div_zero 0
		.amdhsa_exception_fp_ieee_overflow 0
		.amdhsa_exception_fp_ieee_underflow 0
		.amdhsa_exception_fp_ieee_inexact 0
		.amdhsa_exception_int_div_zero 0
	.end_amdhsa_kernel
	.text
.Lfunc_end0:
	.size	bluestein_single_fwd_len714_dim1_dp_op_CI_CI, .Lfunc_end0-bluestein_single_fwd_len714_dim1_dp_op_CI_CI
                                        ; -- End function
	.section	.AMDGPU.csdata,"",@progbits
; Kernel info:
; codeLenInByte = 29552
; NumSgprs: 66
; NumVgprs: 256
; ScratchSize: 688
; MemoryBound: 0
; FloatMode: 240
; IeeeMode: 1
; LDSByteSize: 11424 bytes/workgroup (compile time only)
; SGPRBlocks: 8
; VGPRBlocks: 31
; NumSGPRsForWavesPerEU: 66
; NumVGPRsForWavesPerEU: 256
; Occupancy: 4
; WaveLimiterHint : 1
; COMPUTE_PGM_RSRC2:SCRATCH_EN: 1
; COMPUTE_PGM_RSRC2:USER_SGPR: 6
; COMPUTE_PGM_RSRC2:TRAP_HANDLER: 0
; COMPUTE_PGM_RSRC2:TGID_X_EN: 1
; COMPUTE_PGM_RSRC2:TGID_Y_EN: 0
; COMPUTE_PGM_RSRC2:TGID_Z_EN: 0
; COMPUTE_PGM_RSRC2:TIDIG_COMP_CNT: 0
	.text
	.p2alignl 6, 3214868480
	.fill 48, 4, 3214868480
	.type	__hip_cuid_e286ef3bbcdaf078,@object ; @__hip_cuid_e286ef3bbcdaf078
	.section	.bss,"aw",@nobits
	.globl	__hip_cuid_e286ef3bbcdaf078
__hip_cuid_e286ef3bbcdaf078:
	.byte	0                               ; 0x0
	.size	__hip_cuid_e286ef3bbcdaf078, 1

	.ident	"AMD clang version 19.0.0git (https://github.com/RadeonOpenCompute/llvm-project roc-6.4.0 25133 c7fe45cf4b819c5991fe208aaa96edf142730f1d)"
	.section	".note.GNU-stack","",@progbits
	.addrsig
	.addrsig_sym __hip_cuid_e286ef3bbcdaf078
	.amdgpu_metadata
---
amdhsa.kernels:
  - .args:
      - .actual_access:  read_only
        .address_space:  global
        .offset:         0
        .size:           8
        .value_kind:     global_buffer
      - .actual_access:  read_only
        .address_space:  global
        .offset:         8
        .size:           8
        .value_kind:     global_buffer
      - .actual_access:  read_only
        .address_space:  global
        .offset:         16
        .size:           8
        .value_kind:     global_buffer
      - .actual_access:  read_only
        .address_space:  global
        .offset:         24
        .size:           8
        .value_kind:     global_buffer
      - .actual_access:  read_only
        .address_space:  global
        .offset:         32
        .size:           8
        .value_kind:     global_buffer
      - .offset:         40
        .size:           8
        .value_kind:     by_value
      - .address_space:  global
        .offset:         48
        .size:           8
        .value_kind:     global_buffer
      - .address_space:  global
        .offset:         56
        .size:           8
        .value_kind:     global_buffer
      - .address_space:  global
        .offset:         64
        .size:           8
        .value_kind:     global_buffer
      - .address_space:  global
        .offset:         72
        .size:           8
        .value_kind:     global_buffer
      - .offset:         80
        .size:           4
        .value_kind:     by_value
      - .address_space:  global
        .offset:         88
        .size:           8
        .value_kind:     global_buffer
      - .address_space:  global
        .offset:         96
        .size:           8
        .value_kind:     global_buffer
    .group_segment_fixed_size: 11424
    .kernarg_segment_align: 8
    .kernarg_segment_size: 104
    .language:       OpenCL C
    .language_version:
      - 2
      - 0
    .max_flat_workgroup_size: 51
    .name:           bluestein_single_fwd_len714_dim1_dp_op_CI_CI
    .private_segment_fixed_size: 688
    .sgpr_count:     66
    .sgpr_spill_count: 0
    .symbol:         bluestein_single_fwd_len714_dim1_dp_op_CI_CI.kd
    .uniform_work_group_size: 1
    .uses_dynamic_stack: false
    .vgpr_count:     256
    .vgpr_spill_count: 177
    .wavefront_size: 32
    .workgroup_processor_mode: 1
amdhsa.target:   amdgcn-amd-amdhsa--gfx1030
amdhsa.version:
  - 1
  - 2
...

	.end_amdgpu_metadata
